;; amdgpu-corpus repo=ROCm/rocFFT kind=compiled arch=gfx906 opt=O3
	.text
	.amdgcn_target "amdgcn-amd-amdhsa--gfx906"
	.amdhsa_code_object_version 6
	.protected	bluestein_single_back_len2002_dim1_sp_op_CI_CI ; -- Begin function bluestein_single_back_len2002_dim1_sp_op_CI_CI
	.globl	bluestein_single_back_len2002_dim1_sp_op_CI_CI
	.p2align	8
	.type	bluestein_single_back_len2002_dim1_sp_op_CI_CI,@function
bluestein_single_back_len2002_dim1_sp_op_CI_CI: ; @bluestein_single_back_len2002_dim1_sp_op_CI_CI
; %bb.0:
	s_load_dwordx4 s[12:15], s[4:5], 0x28
	s_mov_b64 s[26:27], s[2:3]
	v_mul_u32_u24_e32 v1, 0x169, v0
	s_mov_b64 s[24:25], s[0:1]
	v_add_u32_sdwa v238, s6, v1 dst_sel:DWORD dst_unused:UNUSED_PAD src0_sel:DWORD src1_sel:WORD_1
	v_mov_b32_e32 v239, 0
	s_add_u32 s24, s24, s7
	s_waitcnt lgkmcnt(0)
	v_cmp_gt_u64_e32 vcc, s[12:13], v[238:239]
	s_addc_u32 s25, s25, 0
	s_and_saveexec_b64 s[0:1], vcc
	s_cbranch_execz .LBB0_31
; %bb.1:
	s_load_dwordx4 s[0:3], s[4:5], 0x18
	s_load_dwordx2 s[16:17], s[4:5], 0x0
	s_waitcnt lgkmcnt(0)
	s_load_dwordx4 s[8:11], s[0:1], 0x0
	s_movk_i32 s0, 0xb6
	v_mul_lo_u16_sdwa v1, v1, s0 dst_sel:DWORD dst_unused:UNUSED_PAD src0_sel:WORD_1 src1_sel:DWORD
	v_sub_u16_e32 v104, v0, v1
	v_lshlrev_b32_e32 v119, 3, v104
	s_waitcnt lgkmcnt(0)
	v_mad_u64_u32 v[0:1], s[0:1], s10, v238, 0
	v_mad_u64_u32 v[2:3], s[0:1], s8, v104, 0
	v_add_co_u32_e64 v120, s[6:7], s16, v119
	v_mad_u64_u32 v[4:5], s[0:1], s11, v238, v[1:2]
	global_load_dwordx2 v[109:110], v119, s[16:17]
	v_mad_u64_u32 v[5:6], s[0:1], s9, v104, v[3:4]
	v_mov_b32_e32 v1, v4
	v_lshlrev_b64 v[0:1], 3, v[0:1]
	v_mov_b32_e32 v6, s15
	v_mov_b32_e32 v3, v5
	v_add_co_u32_e32 v4, vcc, s14, v0
	v_addc_co_u32_e32 v5, vcc, v6, v1, vcc
	v_lshlrev_b64 v[0:1], 3, v[2:3]
	s_mul_i32 s0, s9, 0x3e9
	s_mul_hi_u32 s1, s8, 0x3e9
	v_add_co_u32_e32 v0, vcc, v4, v0
	v_mov_b32_e32 v2, s17
	s_add_i32 s1, s1, s0
	s_mul_i32 s0, s8, 0x3e9
	v_addc_co_u32_e32 v1, vcc, v5, v1, vcc
	v_addc_co_u32_e64 v121, vcc, 0, v2, s[6:7]
	s_lshl_b64 s[14:15], s[0:1], 3
	v_mov_b32_e32 v24, s15
	v_add_co_u32_e32 v2, vcc, s14, v0
	v_addc_co_u32_e32 v3, vcc, v1, v24, vcc
	s_movk_i32 s0, 0x1000
	s_mul_hi_u32 s1, s8, 0xfffffccd
	global_load_dwordx2 v[4:5], v[0:1], off
	global_load_dwordx2 v[6:7], v[2:3], off
	v_add_co_u32_e32 v0, vcc, s0, v120
	s_mul_i32 s0, s9, 0xfffffccd
	s_sub_i32 s1, s1, s8
	s_add_i32 s1, s1, s0
	s_mul_i32 s0, s8, 0xfffffccd
	v_addc_co_u32_e32 v1, vcc, 0, v121, vcc
	s_lshl_b64 s[18:19], s[0:1], 3
	v_mov_b32_e32 v22, s19
	v_add_co_u32_e32 v2, vcc, s18, v2
	v_addc_co_u32_e32 v3, vcc, v3, v22, vcc
	v_add_co_u32_e32 v8, vcc, s14, v2
	v_addc_co_u32_e32 v9, vcc, v3, v24, vcc
	s_movk_i32 s0, 0x2000
	global_load_dwordx2 v[105:106], v[0:1], off offset:3912
	global_load_dwordx2 v[10:11], v[2:3], off
	global_load_dwordx2 v[12:13], v[8:9], off
	v_add_co_u32_e32 v2, vcc, s0, v120
	v_addc_co_u32_e32 v3, vcc, 0, v121, vcc
	v_add_co_u32_e32 v8, vcc, s18, v8
	v_addc_co_u32_e32 v9, vcc, v9, v22, vcc
	global_load_dwordx2 v[14:15], v[8:9], off
	global_load_dwordx2 v[111:112], v119, s[16:17] offset:1456
	global_load_dwordx2 v[102:103], v119, s[16:17] offset:2912
	v_add_co_u32_e32 v8, vcc, s14, v8
	v_addc_co_u32_e32 v9, vcc, v9, v24, vcc
	global_load_dwordx2 v[16:17], v[8:9], off
	global_load_dwordx2 v[107:108], v[2:3], off offset:1272
	global_load_dwordx2 v[100:101], v[2:3], off offset:2728
	v_add_co_u32_e32 v2, vcc, s18, v8
	v_addc_co_u32_e32 v3, vcc, v9, v22, vcc
	global_load_dwordx2 v[8:9], v[2:3], off
	global_load_dwordx2 v[98:99], v[0:1], off offset:272
	v_add_co_u32_e32 v2, vcc, s14, v2
	v_addc_co_u32_e32 v3, vcc, v3, v24, vcc
	s_movk_i32 s0, 0x3000
	v_add_co_u32_e32 v20, vcc, s0, v120
	v_addc_co_u32_e32 v21, vcc, 0, v121, vcc
	global_load_dwordx2 v[18:19], v[2:3], off
	v_add_co_u32_e32 v2, vcc, s18, v2
	v_addc_co_u32_e32 v3, vcc, v3, v22, vcc
	global_load_dwordx2 v[96:97], v[20:21], off offset:88
	global_load_dwordx2 v[22:23], v[2:3], off
	global_load_dwordx2 v[92:93], v[0:1], off offset:1728
	v_add_co_u32_e32 v0, vcc, s14, v2
	v_addc_co_u32_e32 v1, vcc, v3, v24, vcc
	global_load_dwordx2 v[24:25], v[0:1], off
	global_load_dwordx2 v[94:95], v[20:21], off offset:1544
	s_load_dwordx2 s[12:13], s[4:5], 0x38
	s_load_dwordx4 s[8:11], s[2:3], 0x0
	s_movk_i32 s0, 0x5b
	v_cmp_gt_u16_e64 s[0:1], s0, v104
	s_waitcnt vmcnt(18)
	v_mul_f32_e32 v2, v5, v110
	v_mul_f32_e32 v3, v4, v110
	v_fmac_f32_e32 v2, v4, v109
	v_fma_f32 v3, v5, v109, -v3
	s_waitcnt vmcnt(16)
	v_mul_f32_e32 v4, v7, v106
	v_mul_f32_e32 v5, v6, v106
	v_fmac_f32_e32 v4, v6, v105
	v_fma_f32 v5, v7, v105, -v5
	ds_write_b64 v119, v[4:5] offset:8008
	s_waitcnt vmcnt(12)
	v_mul_f32_e32 v4, v11, v112
	v_mul_f32_e32 v5, v10, v112
	v_fmac_f32_e32 v4, v10, v111
	v_fma_f32 v5, v11, v111, -v5
	ds_write2_b64 v119, v[2:3], v[4:5] offset1:182
	s_waitcnt vmcnt(9)
	v_mul_f32_e32 v2, v13, v108
	v_mul_f32_e32 v3, v12, v108
	s_waitcnt vmcnt(8)
	v_mul_f32_e32 v6, v17, v101
	v_mul_f32_e32 v7, v16, v101
	v_fmac_f32_e32 v2, v12, v107
	v_fma_f32 v3, v13, v107, -v3
	v_fmac_f32_e32 v6, v16, v100
	v_fma_f32 v7, v17, v100, -v7
	v_add_u32_e32 v10, 0x2400, v119
	v_mul_f32_e32 v4, v15, v103
	v_mul_f32_e32 v5, v14, v103
	ds_write2_b64 v10, v[2:3], v[6:7] offset0:31 offset1:213
	s_waitcnt vmcnt(6)
	v_mul_f32_e32 v6, v9, v99
	v_mul_f32_e32 v2, v8, v99
	v_fmac_f32_e32 v4, v14, v102
	v_fma_f32 v5, v15, v102, -v5
	v_fmac_f32_e32 v6, v8, v98
	v_fma_f32 v7, v9, v98, -v2
	v_add_u32_e32 v2, 0xa00, v119
	ds_write2_b64 v2, v[4:5], v[6:7] offset0:44 offset1:226
	v_add_u32_e32 v7, 0x3000, v119
	s_waitcnt vmcnt(4)
	v_mul_f32_e32 v3, v19, v97
	s_waitcnt vmcnt(2)
	v_mul_f32_e32 v5, v23, v93
	v_mul_f32_e32 v6, v22, v93
	v_fmac_f32_e32 v5, v22, v92
	v_fma_f32 v6, v23, v92, -v6
	v_mul_f32_e32 v4, v18, v97
	ds_write_b64 v119, v[5:6] offset:5824
	s_waitcnt vmcnt(0)
	v_mul_f32_e32 v5, v25, v95
	v_mul_f32_e32 v6, v24, v95
	v_fmac_f32_e32 v3, v18, v96
	v_fma_f32 v4, v19, v96, -v4
	v_fmac_f32_e32 v5, v24, v94
	v_fma_f32 v6, v25, v94, -v6
	ds_write2_b64 v7, v[3:4], v[5:6] offset0:11 offset1:193
	s_and_saveexec_b64 s[2:3], s[0:1]
	s_cbranch_execz .LBB0_3
; %bb.2:
	v_mov_b32_e32 v3, s19
	v_add_co_u32_e32 v0, vcc, s18, v0
	v_addc_co_u32_e32 v1, vcc, v1, v3, vcc
	v_add_co_u32_e32 v5, vcc, 0x1000, v120
	v_addc_co_u32_e32 v6, vcc, 0, v121, vcc
	global_load_dwordx2 v[3:4], v[0:1], off
	v_mov_b32_e32 v7, s15
	v_add_co_u32_e32 v0, vcc, s14, v0
	v_addc_co_u32_e32 v1, vcc, v1, v7, vcc
	v_add_co_u32_e32 v7, vcc, 0x3000, v120
	global_load_dwordx2 v[5:6], v[5:6], off offset:3184
	v_addc_co_u32_e32 v8, vcc, 0, v121, vcc
	global_load_dwordx2 v[7:8], v[7:8], off offset:3000
	s_waitcnt vmcnt(1)
	v_mul_f32_e32 v9, v4, v6
	global_load_dwordx2 v[0:1], v[0:1], off
	v_mul_f32_e32 v6, v3, v6
	v_fmac_f32_e32 v9, v3, v5
	v_fma_f32 v10, v4, v5, -v6
	ds_write_b64 v119, v[9:10] offset:7280
	s_waitcnt vmcnt(0)
	v_mul_f32_e32 v3, v1, v8
	v_mul_f32_e32 v4, v0, v8
	v_fmac_f32_e32 v3, v0, v7
	v_fma_f32 v4, v1, v7, -v4
	ds_write_b64 v119, v[3:4] offset:15288
.LBB0_3:
	s_or_b64 exec, exec, s[2:3]
	v_add_u32_e32 v0, 0x1e00, v119
	v_add_u32_e32 v8, 0x2a00, v119
	s_waitcnt lgkmcnt(0)
	s_barrier
	ds_read2_b64 v[4:7], v119 offset1:182
	ds_read2_b64 v[12:15], v0 offset0:41 offset1:223
	ds_read2_b64 v[0:3], v2 offset0:44 offset1:226
	;; [unrolled: 1-line block ×3, first 2 shown]
	ds_read_b64 v[16:17], v119 offset:5824
	ds_read_b64 v[20:21], v119 offset:13832
                                        ; implicit-def: $vgpr22
                                        ; implicit-def: $vgpr18
	s_and_saveexec_b64 s[2:3], s[0:1]
	s_cbranch_execz .LBB0_5
; %bb.4:
	ds_read_b64 v[18:19], v119 offset:7280
	ds_read_b64 v[22:23], v119 offset:15288
.LBB0_5:
	s_or_b64 exec, exec, s[2:3]
	s_load_dwordx2 s[14:15], s[4:5], 0x8
	s_movk_i32 s2, 0x38e
	s_waitcnt lgkmcnt(0)
	v_sub_f32_e32 v34, v0, v8
	v_add_co_u32_e32 v50, vcc, 0xb6, v104
	v_add_co_u32_e32 v48, vcc, s2, v104
	v_sub_f32_e32 v26, v4, v12
	v_sub_f32_e32 v27, v5, v13
	;; [unrolled: 1-line block ×5, first 2 shown]
	v_fma_f32 v32, v0, 2.0, -v34
	v_sub_f32_e32 v38, v2, v10
	v_sub_f32_e32 v39, v3, v11
	;; [unrolled: 1-line block ×6, first 2 shown]
	v_lshlrev_b16_e32 v0, 1, v104
	v_lshlrev_b32_e32 v127, 4, v104
	v_fma_f32 v24, v4, 2.0, -v26
	v_fma_f32 v25, v5, 2.0, -v27
	;; [unrolled: 1-line block ×11, first 2 shown]
	v_lshlrev_b32_e32 v125, 3, v0
	v_lshlrev_b32_e32 v126, 4, v50
	v_lshlrev_b32_e32 v124, 4, v48
	s_barrier
	ds_write_b128 v125, v[24:27]
	ds_write_b128 v126, v[28:31]
	ds_write_b128 v127, v[32:35] offset:5824
	ds_write_b128 v127, v[36:39] offset:8736
	;; [unrolled: 1-line block ×3, first 2 shown]
	s_and_saveexec_b64 s[2:3], s[0:1]
	s_cbranch_execz .LBB0_7
; %bb.6:
	ds_write_b128 v124, v[44:47]
.LBB0_7:
	s_or_b64 exec, exec, s[2:3]
	s_movk_i32 s2, 0x9a
	v_cmp_gt_u16_e64 s[2:3], s2, v104
	s_waitcnt lgkmcnt(0)
	s_barrier
	s_waitcnt lgkmcnt(0)
                                        ; implicit-def: $vgpr48
	s_and_saveexec_b64 s[4:5], s[2:3]
	s_cbranch_execz .LBB0_9
; %bb.8:
	v_add_u32_e32 v0, 0x800, v119
	ds_read2_b64 v[28:31], v0 offset0:52 offset1:206
	v_add_u32_e32 v0, 0x1200, v119
	ds_read2_b64 v[32:35], v0 offset0:40 offset1:194
	;; [unrolled: 2-line block ×4, first 2 shown]
	v_add_u32_e32 v0, 0x3000, v119
	ds_read2_b64 v[24:27], v119 offset1:154
	ds_read2_b64 v[44:47], v0 offset0:4 offset1:158
	ds_read_b64 v[48:49], v119 offset:14784
.LBB0_9:
	s_or_b64 exec, exec, s[4:5]
	v_and_b32_e32 v123, 1, v104
	v_mul_u32_u24_e32 v0, 12, v123
	v_lshlrev_b32_e32 v51, 3, v0
	global_load_dwordx4 v[16:19], v51, s[14:15]
	global_load_dwordx4 v[8:11], v51, s[14:15] offset:16
	global_load_dwordx4 v[4:7], v51, s[14:15] offset:32
	;; [unrolled: 1-line block ×5, first 2 shown]
	s_mov_b32 s16, 0x3f62ad3f
	s_mov_b32 s5, 0x3f116cb1
	;; [unrolled: 1-line block ×6, first 2 shown]
	s_waitcnt vmcnt(0) lgkmcnt(0)
	s_barrier
	v_mul_f32_e32 v51, v26, v17
	v_mul_f32_e32 v52, v27, v17
	;; [unrolled: 1-line block ×4, first 2 shown]
	v_fmac_f32_e32 v51, v27, v16
	v_mul_f32_e32 v70, v48, v15
	v_mul_f32_e32 v69, v46, v13
	;; [unrolled: 1-line block ×3, first 2 shown]
	v_fmac_f32_e32 v70, v49, v14
	v_mul_f32_e32 v53, v29, v19
	v_mul_f32_e32 v61, v30, v9
	;; [unrolled: 1-line block ×6, first 2 shown]
	v_fma_f32 v26, v26, v16, -v52
	v_fmac_f32_e32 v60, v29, v18
	v_fmac_f32_e32 v64, v37, v6
	;; [unrolled: 1-line block ×3, first 2 shown]
	v_fma_f32 v37, v48, v14, -v74
	v_sub_f32_e32 v47, v51, v70
	v_mul_f32_e32 v54, v31, v9
	v_mul_f32_e32 v62, v32, v11
	;; [unrolled: 1-line block ×6, first 2 shown]
	v_fma_f32 v27, v28, v18, -v53
	v_fmac_f32_e32 v61, v31, v8
	v_fma_f32 v29, v32, v10, -v55
	v_fma_f32 v31, v36, v6, -v57
	;; [unrolled: 1-line block ×4, first 2 shown]
	v_sub_f32_e32 v46, v26, v37
	v_sub_f32_e32 v167, v60, v69
	v_mul_f32_e32 v38, 0xbeedf032, v47
	v_mul_f32_e32 v56, v35, v5
	;; [unrolled: 1-line block ×5, first 2 shown]
	v_fma_f32 v28, v30, v8, -v54
	v_fmac_f32_e32 v63, v35, v4
	v_fmac_f32_e32 v65, v39, v0
	;; [unrolled: 1-line block ×3, first 2 shown]
	v_fma_f32 v35, v44, v22, -v72
	v_add_f32_e32 v72, v26, v37
	v_add_f32_e32 v73, v51, v70
	v_sub_f32_e32 v128, v27, v36
	v_mul_f32_e32 v41, 0xbeedf032, v46
	v_mul_f32_e32 v39, 0xbf52af12, v167
	v_mov_b32_e32 v44, v38
	v_mul_f32_e32 v67, v42, v21
	v_fma_f32 v30, v34, v4, -v56
	v_fma_f32 v34, v42, v20, -v71
	v_fmac_f32_e32 v68, v45, v22
	v_add_f32_e32 v75, v27, v36
	v_add_f32_e32 v76, v60, v69
	v_sub_f32_e32 v169, v28, v35
	v_mul_f32_e32 v42, 0xbf52af12, v128
	v_fma_f32 v45, v73, s16, -v41
	v_mov_b32_e32 v48, v39
	v_fmac_f32_e32 v44, 0x3f62ad3f, v72
	v_fmac_f32_e32 v62, v33, v10
	;; [unrolled: 1-line block ×3, first 2 shown]
	v_add_f32_e32 v79, v61, v68
	v_sub_f32_e32 v168, v61, v68
	v_mul_f32_e32 v43, 0xbf7e222b, v169
	v_fma_f32 v49, v76, s5, -v42
	v_add_f32_e32 v45, v25, v45
	v_fmac_f32_e32 v48, 0x3f116cb1, v75
	v_add_f32_e32 v44, v24, v44
	v_fma_f32 v33, v40, v2, -v59
	v_mul_f32_e32 v40, 0xbf7e222b, v168
	v_add_f32_e32 v45, v49, v45
	v_add_f32_e32 v44, v48, v44
	v_fma_f32 v48, v79, s4, -v43
	v_sub_f32_e32 v173, v62, v67
	v_add_f32_e32 v78, v28, v35
	v_mov_b32_e32 v52, v40
	v_add_f32_e32 v45, v48, v45
	v_mul_f32_e32 v48, 0xbf6f5d39, v173
	v_fmac_f32_e32 v52, 0x3df6dbef, v78
	v_add_f32_e32 v88, v29, v34
	v_mov_b32_e32 v49, v48
	v_add_f32_e32 v44, v52, v44
	v_sub_f32_e32 v171, v29, v34
	v_fmac_f32_e32 v49, 0xbeb58ec6, v88
	v_add_f32_e32 v89, v62, v67
	v_add_f32_e32 v44, v49, v44
	v_mul_f32_e32 v49, 0xbf6f5d39, v171
	v_sub_f32_e32 v176, v63, v66
	v_fma_f32 v52, v89, s18, -v49
	v_mul_f32_e32 v71, 0xbf29c268, v176
	v_add_f32_e32 v45, v52, v45
	v_add_f32_e32 v116, v30, v33
	v_mov_b32_e32 v52, v71
	v_sub_f32_e32 v177, v30, v33
	v_fmac_f32_e32 v52, 0xbf3f9e67, v116
	v_add_f32_e32 v117, v63, v66
	v_mul_f32_e32 v74, 0xbf29c268, v177
	v_sub_f32_e32 v178, v64, v65
	v_add_f32_e32 v44, v52, v44
	v_fma_f32 v52, v117, s19, -v74
	v_mul_f32_e32 v77, 0xbe750f2a, v178
	v_add_f32_e32 v45, v52, v45
	v_add_f32_e32 v137, v31, v32
	v_mov_b32_e32 v52, v77
	v_sub_f32_e32 v179, v31, v32
	v_fmac_f32_e32 v52, 0xbf788fa5, v137
	v_add_f32_e32 v140, v64, v65
	v_mul_f32_e32 v80, 0xbe750f2a, v179
	v_add_f32_e32 v44, v52, v44
	v_fma_f32 v52, v140, s20, -v80
	v_mul_f32_e32 v81, 0xbf52af12, v47
	v_add_f32_e32 v45, v52, v45
	v_mov_b32_e32 v52, v81
	v_mul_f32_e32 v82, 0xbf6f5d39, v167
	v_fmac_f32_e32 v52, 0x3f116cb1, v72
	v_mov_b32_e32 v53, v82
	v_add_f32_e32 v52, v24, v52
	v_fmac_f32_e32 v53, 0xbeb58ec6, v75
	v_mul_f32_e32 v85, 0xbf52af12, v46
	v_add_f32_e32 v52, v53, v52
	v_fma_f32 v53, v73, s5, -v85
	v_mul_f32_e32 v87, 0xbf6f5d39, v128
	v_add_f32_e32 v53, v25, v53
	v_fma_f32 v54, v76, s18, -v87
	v_mul_f32_e32 v83, 0xbe750f2a, v168
	v_add_f32_e32 v53, v54, v53
	v_mov_b32_e32 v54, v83
	v_fmac_f32_e32 v54, 0xbf788fa5, v78
	v_mul_f32_e32 v91, 0xbe750f2a, v169
	v_add_f32_e32 v52, v54, v52
	v_fma_f32 v54, v79, s20, -v91
	v_mul_f32_e32 v84, 0x3f29c268, v173
	v_add_f32_e32 v53, v54, v53
	v_mov_b32_e32 v54, v84
	v_fmac_f32_e32 v54, 0xbf3f9e67, v88
	v_mul_f32_e32 v113, 0x3f29c268, v171
	v_add_f32_e32 v52, v54, v52
	v_fma_f32 v54, v89, s19, -v113
	v_mul_f32_e32 v86, 0x3f7e222b, v176
	v_add_f32_e32 v53, v54, v53
	v_mov_b32_e32 v54, v86
	v_fmac_f32_e32 v54, 0x3df6dbef, v116
	v_mul_f32_e32 v114, 0x3f7e222b, v177
	v_add_f32_e32 v52, v54, v52
	v_fma_f32 v54, v117, s4, -v114
	v_mul_f32_e32 v90, 0x3eedf032, v178
	v_add_f32_e32 v53, v54, v53
	v_mov_b32_e32 v54, v90
	v_fmac_f32_e32 v54, 0x3f62ad3f, v137
	v_mul_f32_e32 v115, 0x3eedf032, v179
	v_add_f32_e32 v52, v54, v52
	v_fma_f32 v54, v140, s16, -v115
	v_mul_f32_e32 v118, 0xbf7e222b, v47
	v_add_f32_e32 v53, v54, v53
	v_mov_b32_e32 v54, v118
	v_mul_f32_e32 v129, 0xbe750f2a, v167
	v_fmac_f32_e32 v54, 0x3df6dbef, v72
	v_mov_b32_e32 v55, v129
	v_add_f32_e32 v54, v24, v54
	v_fmac_f32_e32 v55, 0xbf788fa5, v75
	v_mul_f32_e32 v132, 0xbf7e222b, v46
	v_add_f32_e32 v54, v55, v54
	v_fma_f32 v55, v73, s4, -v132
	v_mul_f32_e32 v134, 0xbe750f2a, v128
	v_add_f32_e32 v55, v25, v55
	v_fma_f32 v56, v76, s20, -v134
	v_mul_f32_e32 v130, 0x3f6f5d39, v168
	v_add_f32_e32 v55, v56, v55
	v_mov_b32_e32 v56, v130
	v_fmac_f32_e32 v56, 0xbeb58ec6, v78
	v_mul_f32_e32 v136, 0x3f6f5d39, v169
	v_add_f32_e32 v54, v56, v54
	v_fma_f32 v56, v79, s18, -v136
	v_mul_f32_e32 v131, 0x3eedf032, v173
	v_add_f32_e32 v55, v56, v55
	v_mov_b32_e32 v56, v131
	v_fmac_f32_e32 v56, 0x3f62ad3f, v88
	v_mul_f32_e32 v138, 0x3eedf032, v171
	v_add_f32_e32 v54, v56, v54
	v_fma_f32 v56, v89, s16, -v138
	v_mul_f32_e32 v133, 0xbf52af12, v176
	v_add_f32_e32 v55, v56, v55
	v_mov_b32_e32 v56, v133
	v_fmac_f32_e32 v56, 0x3f116cb1, v116
	v_mul_f32_e32 v139, 0xbf52af12, v177
	v_add_f32_e32 v54, v56, v54
	v_fma_f32 v56, v117, s5, -v139
	v_mul_f32_e32 v135, 0xbf29c268, v178
	v_add_f32_e32 v55, v56, v55
	v_mov_b32_e32 v56, v135
	v_fmac_f32_e32 v56, 0xbf3f9e67, v137
	;; [unrolled: 42-line block ×3, first 2 shown]
	v_mul_f32_e32 v153, 0x3f52af12, v179
	v_add_f32_e32 v56, v58, v56
	v_fma_f32 v58, v140, s5, -v153
	v_mul_f32_e32 v154, 0xbf29c268, v47
	v_add_f32_e32 v57, v58, v57
	v_mov_b32_e32 v58, v154
	v_mul_f32_e32 v155, 0x3f7e222b, v167
	v_fmac_f32_e32 v58, 0xbf3f9e67, v72
	v_mov_b32_e32 v59, v155
	v_add_f32_e32 v58, v24, v58
	v_fmac_f32_e32 v59, 0x3df6dbef, v75
	v_mul_f32_e32 v158, 0xbf29c268, v46
	v_add_f32_e32 v58, v59, v58
	v_fma_f32 v59, v73, s19, -v158
	v_mul_f32_e32 v160, 0x3f7e222b, v128
	v_add_f32_e32 v59, v25, v59
	v_fma_f32 v156, v76, s4, -v160
	v_add_f32_e32 v59, v156, v59
	v_mul_f32_e32 v156, 0xbf52af12, v168
	v_mov_b32_e32 v157, v156
	v_fmac_f32_e32 v157, 0x3f116cb1, v78
	v_mul_f32_e32 v162, 0xbf52af12, v169
	v_add_f32_e32 v58, v157, v58
	v_fma_f32 v157, v79, s5, -v162
	v_add_f32_e32 v59, v157, v59
	v_mul_f32_e32 v157, 0x3e750f2a, v173
	v_mov_b32_e32 v159, v157
	v_fmac_f32_e32 v159, 0xbf788fa5, v88
	;; [unrolled: 7-line block ×4, first 2 shown]
	v_add_f32_e32 v58, v165, v58
	v_mul_f32_e32 v165, 0xbf6f5d39, v179
	v_fma_f32 v166, v140, s18, -v165
	v_add_f32_e32 v59, v166, v59
	v_mul_f32_e32 v166, 0xbe750f2a, v47
	v_mov_b32_e32 v47, v166
	v_mul_f32_e32 v167, 0x3eedf032, v167
	v_fmac_f32_e32 v47, 0xbf788fa5, v72
	v_mov_b32_e32 v170, v167
	v_add_f32_e32 v47, v24, v47
	v_fmac_f32_e32 v170, 0x3f62ad3f, v75
	v_add_f32_e32 v47, v170, v47
	v_mul_f32_e32 v170, 0xbe750f2a, v46
	v_fma_f32 v46, v73, s20, -v170
	v_mul_f32_e32 v172, 0x3eedf032, v128
	v_add_f32_e32 v46, v25, v46
	v_fma_f32 v128, v76, s16, -v172
	v_mul_f32_e32 v168, 0xbf29c268, v168
	v_add_f32_e32 v46, v128, v46
	v_mov_b32_e32 v128, v168
	v_fmac_f32_e32 v128, 0xbf3f9e67, v78
	v_mul_f32_e32 v174, 0xbf29c268, v169
	v_add_f32_e32 v47, v128, v47
	v_fma_f32 v128, v79, s19, -v174
	v_mul_f32_e32 v169, 0x3f52af12, v173
	v_add_f32_e32 v46, v128, v46
	v_mov_b32_e32 v128, v169
	v_fmac_f32_e32 v128, 0x3f116cb1, v88
	;; [unrolled: 7-line block ×3, first 2 shown]
	v_mul_f32_e32 v176, 0xbf6f5d39, v177
	v_add_f32_e32 v47, v128, v47
	v_fma_f32 v128, v117, s18, -v176
	v_mul_f32_e32 v173, 0x3f7e222b, v178
	v_add_f32_e32 v128, v128, v46
	v_mov_b32_e32 v46, v173
	v_mul_f32_e32 v177, 0x3f7e222b, v179
	v_fmac_f32_e32 v46, 0x3df6dbef, v137
	v_add_f32_e32 v46, v46, v47
	v_fma_f32 v47, v140, s4, -v177
	v_add_f32_e32 v47, v47, v128
	v_lshrrev_b32_e32 v128, 1, v104
	s_and_saveexec_b64 s[4:5], s[2:3]
	s_cbranch_execz .LBB0_11
; %bb.10:
	v_mul_f32_e32 v178, 0x3f62ad3f, v72
	v_mul_f32_e32 v180, 0x3f116cb1, v72
	;; [unrolled: 1-line block ×18, first 2 shown]
	v_sub_f32_e32 v72, v72, v166
	v_mul_f32_e32 v189, 0x3f116cb1, v76
	v_mul_f32_e32 v191, 0xbeb58ec6, v76
	;; [unrolled: 1-line block ×12, first 2 shown]
	v_add_f32_e32 v73, v170, v73
	v_add_f32_e32 v72, v24, v72
	v_sub_f32_e32 v75, v75, v167
	v_mul_f32_e32 v199, 0x3df6dbef, v79
	v_mul_f32_e32 v201, 0xbf788fa5, v79
	v_mul_f32_e32 v203, 0xbeb58ec6, v79
	v_mul_f32_e32 v205, 0x3f62ad3f, v79
	v_mul_f32_e32 v207, 0x3f116cb1, v79
	v_mul_f32_e32 v79, 0xbf3f9e67, v79
	v_mul_f32_e32 v208, 0xbeb58ec6, v88
	v_mul_f32_e32 v210, 0xbf3f9e67, v88
	v_mul_f32_e32 v212, 0x3f62ad3f, v88
	v_mul_f32_e32 v214, 0x3df6dbef, v88
	v_mul_f32_e32 v216, 0xbf788fa5, v88
	v_mul_f32_e32 v88, 0x3f116cb1, v88
	v_add_f32_e32 v73, v25, v73
	v_add_f32_e32 v76, v172, v76
	v_add_f32_e32 v72, v75, v72
	v_sub_f32_e32 v75, v78, v168
	v_mul_f32_e32 v209, 0xbeb58ec6, v89
	v_mul_f32_e32 v211, 0xbf3f9e67, v89
	v_mul_f32_e32 v213, 0x3f62ad3f, v89
	v_mul_f32_e32 v215, 0x3df6dbef, v89
	v_mul_f32_e32 v217, 0xbf788fa5, v89
	v_mul_f32_e32 v89, 0x3f116cb1, v89
	v_mul_f32_e32 v218, 0xbf3f9e67, v116
	v_mul_f32_e32 v220, 0x3df6dbef, v116
	v_mul_f32_e32 v222, 0x3f116cb1, v116
	v_mul_f32_e32 v224, 0xbf788fa5, v116
	v_mul_f32_e32 v226, 0x3f62ad3f, v116
	v_mul_f32_e32 v116, 0xbeb58ec6, v116
	v_add_f32_e32 v73, v76, v73
	;; [unrolled: 16-line block ×3, first 2 shown]
	v_add_f32_e32 v76, v175, v89
	v_add_f32_e32 v72, v75, v72
	v_sub_f32_e32 v75, v116, v171
	v_mul_f32_e32 v229, 0xbf788fa5, v140
	v_mul_f32_e32 v231, 0x3f62ad3f, v140
	;; [unrolled: 1-line block ×6, first 2 shown]
	v_add_f32_e32 v73, v76, v73
	v_add_f32_e32 v76, v176, v117
	;; [unrolled: 1-line block ×3, first 2 shown]
	v_sub_f32_e32 v75, v137, v173
	v_add_f32_e32 v73, v76, v73
	v_add_f32_e32 v76, v177, v140
	;; [unrolled: 1-line block ×16, first 2 shown]
	v_sub_f32_e32 v75, v186, v154
	v_add_f32_e32 v75, v24, v75
	v_sub_f32_e32 v78, v196, v155
	v_add_f32_e32 v75, v78, v75
	;; [unrolled: 2-line block ×6, first 2 shown]
	v_add_f32_e32 v78, v146, v185
	v_add_f32_e32 v78, v25, v78
	;; [unrolled: 1-line block ×12, first 2 shown]
	v_sub_f32_e32 v78, v184, v142
	v_add_f32_e32 v78, v24, v78
	v_sub_f32_e32 v88, v194, v143
	v_add_f32_e32 v78, v88, v78
	;; [unrolled: 2-line block ×6, first 2 shown]
	v_add_f32_e32 v88, v132, v183
	v_add_f32_e32 v88, v25, v88
	;; [unrolled: 1-line block ×12, first 2 shown]
	v_sub_f32_e32 v88, v182, v118
	v_add_f32_e32 v85, v85, v181
	v_sub_f32_e32 v81, v180, v81
	v_add_f32_e32 v41, v41, v179
	;; [unrolled: 2-line block ×3, first 2 shown]
	v_add_f32_e32 v85, v25, v85
	v_add_f32_e32 v81, v24, v81
	v_add_f32_e32 v41, v25, v41
	v_add_f32_e32 v38, v24, v38
	v_add_f32_e32 v25, v25, v51
	v_add_f32_e32 v24, v24, v26
	v_add_f32_e32 v25, v25, v60
	v_add_f32_e32 v24, v24, v27
	v_add_f32_e32 v25, v25, v61
	v_add_f32_e32 v24, v24, v28
	v_add_f32_e32 v25, v25, v62
	v_add_f32_e32 v24, v24, v29
	v_add_f32_e32 v25, v25, v63
	v_add_f32_e32 v24, v24, v30
	v_add_f32_e32 v25, v25, v64
	v_add_f32_e32 v24, v24, v31
	v_add_f32_e32 v42, v42, v189
	v_sub_f32_e32 v39, v188, v39
	v_add_f32_e32 v25, v25, v65
	v_add_f32_e32 v24, v24, v32
	v_sub_f32_e32 v116, v192, v129
	v_add_f32_e32 v87, v87, v191
	v_sub_f32_e32 v82, v190, v82
	v_add_f32_e32 v41, v42, v41
	v_add_f32_e32 v42, v43, v199
	v_add_f32_e32 v38, v39, v38
	v_sub_f32_e32 v39, v198, v40
	v_add_f32_e32 v25, v25, v66
	v_add_f32_e32 v24, v24, v33
	;; [unrolled: 4-line block ×8, first 2 shown]
	v_mul_u32_u24_e32 v26, 26, v128
	v_add_f32_e32 v88, v116, v88
	v_sub_f32_e32 v116, v222, v133
	v_add_f32_e32 v85, v87, v85
	v_add_f32_e32 v87, v114, v221
	v_add_f32_e32 v81, v82, v81
	v_sub_f32_e32 v82, v220, v86
	v_add_f32_e32 v41, v42, v41
	v_add_f32_e32 v42, v80, v229
	;; [unrolled: 4-line block ×3, first 2 shown]
	v_or_b32_e32 v26, v26, v123
	v_add_f32_e32 v88, v116, v88
	v_sub_f32_e32 v116, v232, v135
	v_add_f32_e32 v85, v87, v85
	v_add_f32_e32 v87, v115, v231
	v_add_f32_e32 v81, v82, v81
	v_sub_f32_e32 v82, v230, v90
	v_add_f32_e32 v41, v42, v41
	v_add_f32_e32 v40, v39, v38
	;; [unrolled: 1-line block ×4, first 2 shown]
	v_lshlrev_b32_e32 v26, 3, v26
	v_add_f32_e32 v88, v116, v88
	v_add_f32_e32 v85, v87, v85
	v_add_f32_e32 v84, v82, v81
	ds_write2_b64 v26, v[24:25], v[40:41] offset1:2
	ds_write2_b64 v26, v[84:85], v[88:89] offset0:4 offset1:6
	ds_write2_b64 v26, v[78:79], v[75:76] offset0:8 offset1:10
	;; [unrolled: 1-line block ×5, first 2 shown]
	ds_write_b64 v26, v[44:45] offset:192
.LBB0_11:
	s_or_b64 exec, exec, s[4:5]
	s_waitcnt lgkmcnt(0)
	s_barrier
	ds_read_b64 v[60:61], v119
	ds_read_b64 v[72:73], v119 offset:2288
	ds_read_b64 v[70:71], v119 offset:4576
	;; [unrolled: 1-line block ×6, first 2 shown]
	s_movk_i32 s4, 0x68
	v_cmp_gt_u16_e64 s[4:5], s4, v104
                                        ; implicit-def: $vgpr74
	s_and_saveexec_b64 s[18:19], s[4:5]
	s_cbranch_execz .LBB0_13
; %bb.12:
	ds_read_b64 v[46:47], v119 offset:1456
	ds_read_b64 v[58:59], v119 offset:3744
	;; [unrolled: 1-line block ×7, first 2 shown]
.LBB0_13:
	s_or_b64 exec, exec, s[18:19]
	s_movk_i32 s16, 0x4ec5
	v_mul_u32_u24_sdwa v24, v50, s16 dst_sel:DWORD dst_unused:UNUSED_PAD src0_sel:WORD_0 src1_sel:DWORD
	s_movk_i32 s16, 0x4f
	v_mul_lo_u16_sdwa v32, v104, s16 dst_sel:DWORD dst_unused:UNUSED_PAD src0_sel:BYTE_0 src1_sel:DWORD
	v_lshrrev_b32_e32 v131, 19, v24
	v_lshrrev_b16_e32 v80, 11, v32
	v_mul_lo_u16_e32 v24, 26, v131
	v_mul_lo_u16_e32 v32, 26, v80
	v_sub_u16_e32 v122, v50, v24
	v_sub_u16_e32 v32, v104, v32
	v_mul_lo_u16_e32 v24, 48, v122
	v_and_b32_e32 v81, 0xff, v32
	v_mov_b32_e32 v25, s15
	v_add_co_u32_e32 v76, vcc, s14, v24
	v_mad_u64_u32 v[78:79], s[18:19], v81, 48, s[14:15]
	v_addc_co_u32_e32 v77, vcc, 0, v25, vcc
	global_load_dwordx4 v[28:31], v[76:77], off offset:208
	global_load_dwordx4 v[24:27], v[76:77], off offset:224
	;; [unrolled: 1-line block ×6, first 2 shown]
	s_mov_b32 s16, 0x3f5ff5aa
	s_mov_b32 s18, 0x3f3bfb3b
	;; [unrolled: 1-line block ×4, first 2 shown]
	s_waitcnt vmcnt(0) lgkmcnt(0)
	s_barrier
	v_mul_f32_e32 v79, v52, v31
	v_mul_f32_e32 v83, v44, v25
	;; [unrolled: 1-line block ×8, first 2 shown]
	v_fmac_f32_e32 v79, v53, v30
	v_fmac_f32_e32 v83, v45, v24
	v_fma_f32 v45, v74, v26, -v84
	v_mul_f32_e32 v53, v73, v49
	v_mul_f32_e32 v74, v71, v51
	;; [unrolled: 1-line block ×4, first 2 shown]
	v_fma_f32 v54, v54, v28, -v76
	v_fmac_f32_e32 v77, v55, v28
	v_fma_f32 v44, v44, v24, -v82
	v_fmac_f32_e32 v85, v75, v26
	v_mul_f32_e32 v55, v72, v49
	v_mul_f32_e32 v75, v70, v51
	;; [unrolled: 1-line block ×7, first 2 shown]
	v_fma_f32 v53, v72, v48, -v53
	v_fma_f32 v70, v70, v50, -v74
	;; [unrolled: 1-line block ×5, first 2 shown]
	v_mul_f32_e32 v78, v68, v41
	v_mul_f32_e32 v84, v66, v43
	;; [unrolled: 1-line block ×4, first 2 shown]
	v_fmac_f32_e32 v55, v73, v48
	v_fmac_f32_e32 v75, v71, v50
	v_fma_f32 v68, v68, v40, -v76
	v_fma_f32 v66, v66, v42, -v82
	v_fmac_f32_e32 v87, v65, v36
	v_fmac_f32_e32 v89, v63, v38
	;; [unrolled: 1-line block ×3, first 2 shown]
	v_add_f32_e32 v57, v53, v62
	v_sub_f32_e32 v53, v53, v62
	v_add_f32_e32 v62, v70, v64
	v_mul_f32_e32 v90, v59, v33
	v_fmac_f32_e32 v78, v69, v40
	v_fmac_f32_e32 v84, v67, v42
	;; [unrolled: 1-line block ×3, first 2 shown]
	v_add_f32_e32 v59, v55, v89
	v_add_f32_e32 v63, v75, v87
	v_sub_f32_e32 v64, v70, v64
	v_add_f32_e32 v67, v68, v66
	v_sub_f32_e32 v66, v66, v68
	;; [unrolled: 2-line block ×5, first 2 shown]
	v_sub_f32_e32 v57, v57, v67
	v_sub_f32_e32 v74, v67, v62
	v_add_f32_e32 v62, v66, v64
	v_add_f32_e32 v67, v67, v70
	v_sub_f32_e32 v55, v55, v89
	v_sub_f32_e32 v73, v63, v59
	;; [unrolled: 1-line block ×4, first 2 shown]
	v_add_f32_e32 v63, v68, v65
	v_sub_f32_e32 v76, v66, v64
	v_sub_f32_e32 v66, v53, v66
	;; [unrolled: 1-line block ×3, first 2 shown]
	v_add_f32_e32 v69, v69, v71
	v_add_f32_e32 v53, v62, v53
	;; [unrolled: 1-line block ×3, first 2 shown]
	v_sub_f32_e32 v78, v68, v65
	v_sub_f32_e32 v68, v55, v68
	;; [unrolled: 1-line block ×3, first 2 shown]
	v_add_f32_e32 v55, v63, v55
	v_add_f32_e32 v63, v61, v69
	v_mov_b32_e32 v82, v62
	v_mul_f32_e32 v57, 0x3f4a47b2, v57
	v_mul_f32_e32 v59, 0x3f4a47b2, v59
	;; [unrolled: 1-line block ×6, first 2 shown]
	v_fmac_f32_e32 v82, 0xbf955555, v67
	v_mov_b32_e32 v67, v63
	v_mul_f32_e32 v78, 0xbf08b237, v78
	v_mul_f32_e32 v71, 0x3f5ff5aa, v65
	v_fmac_f32_e32 v67, 0xbf955555, v69
	v_fma_f32 v60, v72, s18, -v60
	v_fma_f32 v61, v73, s18, -v61
	v_fma_f32 v69, v72, s19, -v57
	v_fma_f32 v72, v73, s19, -v59
	v_fmac_f32_e32 v59, 0x3d64c772, v75
	v_fma_f32 v73, v64, s16, -v76
	v_fmac_f32_e32 v76, 0x3eae86e6, v66
	v_fma_f32 v75, v66, s20, -v70
	v_fma_f32 v58, v58, v32, -v90
	;; [unrolled: 1-line block ×3, first 2 shown]
	v_fmac_f32_e32 v57, 0x3d64c772, v74
	v_fma_f32 v74, v65, s16, -v78
	v_fmac_f32_e32 v78, 0x3eae86e6, v68
	v_fma_f32 v84, v68, s20, -v71
	v_add_f32_e32 v59, v59, v67
	v_add_f32_e32 v61, v61, v67
	v_add_f32_e32 v86, v72, v67
	v_fmac_f32_e32 v76, 0x3ee1c552, v53
	v_fmac_f32_e32 v73, 0x3ee1c552, v53
	v_fmac_f32_e32 v75, 0x3ee1c552, v53
	v_add_f32_e32 v57, v57, v82
	v_add_f32_e32 v60, v60, v82
	v_add_f32_e32 v82, v69, v82
	v_fmac_f32_e32 v78, 0x3ee1c552, v55
	v_fmac_f32_e32 v74, 0x3ee1c552, v55
	;; [unrolled: 1-line block ×3, first 2 shown]
	v_sub_f32_e32 v65, v59, v76
	v_sub_f32_e32 v67, v86, v75
	v_add_f32_e32 v69, v73, v61
	v_sub_f32_e32 v71, v61, v73
	v_add_f32_e32 v73, v75, v86
	v_add_f32_e32 v75, v76, v59
	;; [unrolled: 1-line block ×4, first 2 shown]
	v_sub_f32_e32 v45, v58, v45
	v_add_f32_e32 v58, v56, v44
	v_add_f32_e32 v59, v114, v83
	v_sub_f32_e32 v68, v60, v74
	v_add_f32_e32 v70, v74, v60
	v_sub_f32_e32 v44, v56, v44
	v_add_f32_e32 v60, v54, v52
	v_add_f32_e32 v61, v77, v79
	v_sub_f32_e32 v52, v52, v54
	v_sub_f32_e32 v54, v79, v77
	v_add_f32_e32 v76, v58, v53
	v_add_f32_e32 v77, v59, v55
	;; [unrolled: 1-line block ×4, first 2 shown]
	v_sub_f32_e32 v72, v82, v84
	v_sub_f32_e32 v74, v57, v78
	;; [unrolled: 1-line block ×10, first 2 shown]
	v_add_f32_e32 v82, v52, v44
	v_add_f32_e32 v60, v60, v76
	;; [unrolled: 1-line block ×4, first 2 shown]
	v_sub_f32_e32 v84, v52, v44
	v_sub_f32_e32 v85, v54, v56
	;; [unrolled: 1-line block ×5, first 2 shown]
	v_add_f32_e32 v76, v82, v45
	v_add_f32_e32 v44, v46, v60
	;; [unrolled: 1-line block ×3, first 2 shown]
	v_sub_f32_e32 v54, v57, v54
	v_add_f32_e32 v77, v83, v57
	v_mul_f32_e32 v57, 0x3f4a47b2, v53
	v_mul_f32_e32 v82, 0x3f4a47b2, v55
	;; [unrolled: 1-line block ×8, first 2 shown]
	v_mov_b32_e32 v85, v44
	v_mov_b32_e32 v87, v45
	v_fmac_f32_e32 v85, 0xbf955555, v60
	v_fmac_f32_e32 v87, 0xbf955555, v61
	v_fma_f32 v60, v78, s18, -v53
	v_fma_f32 v61, v79, s18, -v55
	;; [unrolled: 1-line block ×3, first 2 shown]
	v_fmac_f32_e32 v57, 0x3d64c772, v58
	v_fma_f32 v79, v79, s19, -v82
	v_fmac_f32_e32 v82, 0x3d64c772, v59
	v_fma_f32 v52, v52, s16, -v46
	;; [unrolled: 2-line block ×4, first 2 shown]
	v_fma_f32 v56, v54, s20, -v84
	v_add_f32_e32 v54, v57, v85
	v_add_f32_e32 v57, v82, v87
	v_add_f32_e32 v58, v60, v85
	v_add_f32_e32 v60, v61, v87
	v_add_f32_e32 v59, v78, v85
	v_add_f32_e32 v61, v79, v87
	v_fmac_f32_e32 v46, 0x3ee1c552, v76
	v_fmac_f32_e32 v47, 0x3ee1c552, v77
	v_fmac_f32_e32 v52, 0x3ee1c552, v76
	v_fmac_f32_e32 v53, 0x3ee1c552, v77
	v_fmac_f32_e32 v55, 0x3ee1c552, v76
	v_fmac_f32_e32 v56, 0x3ee1c552, v77
	v_mul_u32_u24_e32 v76, 0xb6, v80
	v_add_f32_e32 v88, v53, v58
	v_sub_f32_e32 v89, v60, v52
	v_sub_f32_e32 v115, v59, v56
	v_add_f32_e32 v116, v55, v61
	v_sub_f32_e32 v113, v54, v47
	v_add_f32_e32 v114, v46, v57
	s_movk_i32 s16, 0xb6
	v_add_lshl_u32 v208, v76, v81, 3
	ds_write2_b64 v208, v[62:63], v[64:65] offset1:26
	ds_write2_b64 v208, v[66:67], v[68:69] offset0:52 offset1:78
	ds_write2_b64 v208, v[70:71], v[72:73] offset0:104 offset1:130
	ds_write_b64 v208, v[74:75] offset:1248
	s_and_saveexec_b64 s[18:19], s[4:5]
	s_cbranch_execz .LBB0_15
; %bb.14:
	v_sub_f32_e32 v62, v58, v53
	v_sub_f32_e32 v53, v61, v55
	v_sub_f32_e32 v55, v57, v46
	v_mad_legacy_u16 v46, v131, s16, v122
	v_add_f32_e32 v54, v47, v54
	v_lshlrev_b32_e32 v46, 3, v46
	v_add_f32_e32 v63, v52, v60
	v_add_f32_e32 v52, v56, v59
	ds_write2_b64 v46, v[44:45], v[54:55] offset1:26
	ds_write2_b64 v46, v[52:53], v[62:63] offset0:52 offset1:78
	ds_write2_b64 v46, v[88:89], v[115:116] offset0:104 offset1:130
	ds_write_b64 v46, v[113:114] offset:1248
.LBB0_15:
	s_or_b64 exec, exec, s[18:19]
	v_mov_b32_e32 v45, s15
	s_movk_i32 s16, 0x50
	v_mov_b32_e32 v44, s14
	v_mad_u64_u32 v[68:69], s[14:15], v104, s16, v[44:45]
	s_waitcnt lgkmcnt(0)
	s_barrier
	global_load_dwordx4 v[60:63], v[68:69], off offset:1440
	global_load_dwordx4 v[56:59], v[68:69], off offset:1456
	;; [unrolled: 1-line block ×5, first 2 shown]
	ds_read2_b64 v[71:74], v119 offset1:182
	ds_read_b64 v[68:69], v119 offset:14560
	v_add_u32_e32 v78, 0xa00, v119
	v_add_u32_e32 v77, 0x1600, v119
	;; [unrolled: 1-line block ×4, first 2 shown]
	ds_read2_b64 v[79:82], v78 offset0:44 offset1:226
	ds_read2_b64 v[83:86], v77 offset0:24 offset1:206
	;; [unrolled: 1-line block ×4, first 2 shown]
	v_mov_b32_e32 v70, s17
	s_mov_b32 s14, 0x3f575c64
	v_addc_co_u32_e64 v70, vcc, 0, v70, s[6:7]
	s_mov_b32 s6, 0x3ed4b147
	s_mov_b32 s7, 0xbe11bafb
	;; [unrolled: 1-line block ×4, first 2 shown]
	s_waitcnt vmcnt(4) lgkmcnt(5)
	v_mul_f32_e32 v75, v74, v61
	v_mul_f32_e32 v76, v73, v61
	s_waitcnt lgkmcnt(3)
	v_mul_f32_e32 v90, v80, v63
	v_mul_f32_e32 v91, v79, v63
	s_waitcnt vmcnt(2) lgkmcnt(2)
	v_mul_f32_e32 v143, v86, v53
	s_waitcnt vmcnt(0)
	v_mul_f32_e32 v154, v68, v67
	v_fma_f32 v73, v73, v60, -v75
	v_fmac_f32_e32 v76, v74, v60
	v_mul_f32_e32 v117, v82, v57
	v_mul_f32_e32 v118, v81, v57
	;; [unrolled: 1-line block ×4, first 2 shown]
	v_fma_f32 v74, v79, v62, -v90
	v_fmac_f32_e32 v91, v80, v62
	v_fma_f32 v80, v85, v52, -v143
	v_fmac_f32_e32 v154, v69, v66
	v_add_f32_e32 v69, v71, v73
	v_add_f32_e32 v85, v72, v76
	v_mul_f32_e32 v141, v84, v59
	v_mul_f32_e32 v142, v83, v59
	v_fma_f32 v75, v81, v56, -v117
	v_fmac_f32_e32 v118, v82, v56
	v_add_f32_e32 v69, v69, v74
	v_add_f32_e32 v85, v85, v91
	v_fma_f32 v79, v83, v58, -v141
	v_fmac_f32_e32 v142, v84, v58
	v_add_f32_e32 v69, v69, v75
	v_add_f32_e32 v85, v85, v118
	s_waitcnt lgkmcnt(1)
	v_mul_f32_e32 v145, v133, v55
	v_mul_f32_e32 v146, v132, v55
	v_fmac_f32_e32 v144, v86, v52
	v_add_f32_e32 v69, v69, v79
	v_add_f32_e32 v85, v85, v142
	v_mul_f32_e32 v147, v135, v45
	v_mul_f32_e32 v148, v134, v45
	v_fma_f32 v81, v132, v54, -v145
	v_fmac_f32_e32 v146, v133, v54
	v_add_f32_e32 v69, v69, v80
	v_add_f32_e32 v85, v85, v144
	s_waitcnt lgkmcnt(0)
	v_mul_f32_e32 v149, v137, v47
	v_mul_f32_e32 v150, v136, v47
	v_fma_f32 v82, v134, v44, -v147
	v_fmac_f32_e32 v148, v135, v44
	v_add_f32_e32 v69, v69, v81
	v_add_f32_e32 v85, v85, v146
	v_mul_f32_e32 v151, v139, v65
	v_mul_f32_e32 v152, v138, v65
	v_fma_f32 v83, v136, v46, -v149
	v_fmac_f32_e32 v150, v137, v46
	v_fma_f32 v68, v68, v66, -v153
	v_add_f32_e32 v69, v69, v82
	v_add_f32_e32 v85, v85, v148
	v_fma_f32 v84, v138, v64, -v151
	v_fmac_f32_e32 v152, v139, v64
	v_add_f32_e32 v86, v73, v68
	v_add_f32_e32 v90, v76, v154
	v_sub_f32_e32 v73, v73, v68
	v_sub_f32_e32 v76, v76, v154
	v_add_f32_e32 v69, v69, v83
	v_add_f32_e32 v85, v85, v150
	v_mul_f32_e32 v117, 0xbf0a6770, v76
	v_mul_f32_e32 v132, 0xbf0a6770, v73
	v_add_f32_e32 v69, v69, v84
	v_add_f32_e32 v85, v85, v152
	v_mul_f32_e32 v136, 0xbf68dda4, v73
	v_mul_f32_e32 v141, 0xbf7d64f0, v73
	;; [unrolled: 1-line block ×4, first 2 shown]
	v_fma_f32 v133, v86, s14, -v117
	v_mov_b32_e32 v134, v132
	v_add_f32_e32 v68, v69, v68
	v_add_f32_e32 v69, v85, v154
	v_fmac_f32_e32 v117, 0x3f575c64, v86
	v_mov_b32_e32 v137, v136
	v_mov_b32_e32 v143, v141
	;; [unrolled: 1-line block ×4, first 2 shown]
	v_fmac_f32_e32 v134, 0x3f575c64, v90
	v_add_f32_e32 v85, v71, v117
	v_fma_f32 v117, v90, s14, -v132
	v_fmac_f32_e32 v137, 0x3ed4b147, v90
	v_fma_f32 v136, v90, s6, -v136
	v_fmac_f32_e32 v143, 0xbe11bafb, v90
	;; [unrolled: 2-line block ×4, first 2 shown]
	v_fma_f32 v73, v90, s16, -v73
	v_add_f32_e32 v134, v72, v134
	v_add_f32_e32 v117, v72, v117
	v_mul_f32_e32 v132, 0xbf68dda4, v76
	v_add_f32_e32 v137, v72, v137
	v_add_f32_e32 v136, v72, v136
	v_mul_f32_e32 v138, 0xbf7d64f0, v76
	;; [unrolled: 3-line block ×4, first 2 shown]
	v_add_f32_e32 v154, v72, v154
	v_add_f32_e32 v72, v72, v73
	;; [unrolled: 1-line block ×3, first 2 shown]
	v_sub_f32_e32 v74, v74, v84
	v_sub_f32_e32 v84, v91, v152
	v_fma_f32 v135, v86, s6, -v132
	v_fmac_f32_e32 v132, 0x3ed4b147, v86
	v_fma_f32 v139, v86, s7, -v138
	v_fmac_f32_e32 v138, 0xbe11bafb, v86
	;; [unrolled: 2-line block ×4, first 2 shown]
	v_mul_f32_e32 v86, 0xbf68dda4, v84
	v_add_f32_e32 v133, v71, v133
	v_add_f32_e32 v135, v71, v135
	v_add_f32_e32 v132, v71, v132
	v_add_f32_e32 v139, v71, v139
	v_add_f32_e32 v138, v71, v138
	v_add_f32_e32 v147, v71, v147
	v_add_f32_e32 v145, v71, v145
	v_add_f32_e32 v153, v71, v153
	v_add_f32_e32 v71, v71, v76
	v_add_f32_e32 v76, v91, v152
	v_fma_f32 v90, v73, s6, -v86
	v_mul_f32_e32 v91, 0xbf68dda4, v74
	v_add_f32_e32 v90, v90, v133
	v_mov_b32_e32 v133, v91
	v_fmac_f32_e32 v86, 0x3ed4b147, v73
	v_fmac_f32_e32 v133, 0x3ed4b147, v76
	v_add_f32_e32 v85, v86, v85
	v_fma_f32 v86, v76, s6, -v91
	v_mul_f32_e32 v91, 0xbf4178ce, v84
	v_add_f32_e32 v133, v133, v134
	v_add_f32_e32 v86, v86, v117
	v_fma_f32 v117, v73, s15, -v91
	v_mul_f32_e32 v134, 0xbf4178ce, v74
	v_add_f32_e32 v117, v117, v135
	v_mov_b32_e32 v135, v134
	v_fmac_f32_e32 v91, 0xbf27a4f4, v73
	v_fmac_f32_e32 v135, 0xbf27a4f4, v76
	v_add_f32_e32 v91, v91, v132
	v_fma_f32 v132, v76, s15, -v134
	v_mul_f32_e32 v134, 0x3e903f40, v84
	v_add_f32_e32 v135, v135, v137
	v_add_f32_e32 v132, v132, v136
	v_fma_f32 v136, v73, s16, -v134
	v_mul_f32_e32 v137, 0x3e903f40, v74
	v_add_f32_e32 v136, v136, v139
	v_mov_b32_e32 v139, v137
	v_fmac_f32_e32 v134, 0xbf75a155, v73
	v_fmac_f32_e32 v139, 0xbf75a155, v76
	v_add_f32_e32 v134, v134, v138
	v_fma_f32 v137, v76, s16, -v137
	v_mul_f32_e32 v138, 0x3f7d64f0, v84
	v_add_f32_e32 v139, v139, v143
	v_add_f32_e32 v137, v137, v141
	v_fma_f32 v141, v73, s7, -v138
	v_mul_f32_e32 v143, 0x3f7d64f0, v74
	v_add_f32_e32 v141, v141, v147
	v_mov_b32_e32 v147, v143
	v_fma_f32 v143, v76, s7, -v143
	v_mul_f32_e32 v74, 0x3f0a6770, v74
	v_fmac_f32_e32 v138, 0xbe11bafb, v73
	v_add_f32_e32 v143, v143, v149
	v_mul_f32_e32 v84, 0x3f0a6770, v84
	v_mov_b32_e32 v149, v74
	v_fmac_f32_e32 v147, 0xbe11bafb, v76
	v_add_f32_e32 v138, v138, v145
	v_fma_f32 v145, v73, s14, -v84
	v_fmac_f32_e32 v149, 0x3f575c64, v76
	v_fmac_f32_e32 v84, 0x3f575c64, v73
	v_fma_f32 v73, v76, s14, -v74
	v_sub_f32_e32 v76, v118, v150
	v_add_f32_e32 v72, v73, v72
	v_add_f32_e32 v73, v75, v83
	v_sub_f32_e32 v75, v75, v83
	v_mul_f32_e32 v83, 0xbf7d64f0, v76
	v_add_f32_e32 v71, v84, v71
	v_fma_f32 v84, v73, s7, -v83
	v_add_f32_e32 v74, v118, v150
	v_add_f32_e32 v84, v84, v90
	v_mul_f32_e32 v90, 0xbf7d64f0, v75
	v_fmac_f32_e32 v83, 0xbe11bafb, v73
	v_add_f32_e32 v83, v83, v85
	v_fma_f32 v85, v74, s7, -v90
	v_add_f32_e32 v85, v85, v86
	v_mul_f32_e32 v86, 0x3e903f40, v76
	v_mov_b32_e32 v118, v90
	v_fma_f32 v90, v73, s16, -v86
	v_fmac_f32_e32 v118, 0xbe11bafb, v74
	v_add_f32_e32 v90, v90, v117
	v_mul_f32_e32 v117, 0x3e903f40, v75
	v_add_f32_e32 v118, v118, v133
	v_mov_b32_e32 v133, v117
	v_fmac_f32_e32 v86, 0xbf75a155, v73
	v_fmac_f32_e32 v133, 0xbf75a155, v74
	v_add_f32_e32 v86, v86, v91
	v_fma_f32 v91, v74, s16, -v117
	v_mul_f32_e32 v117, 0x3f68dda4, v76
	v_add_f32_e32 v133, v133, v135
	v_add_f32_e32 v91, v91, v132
	v_fma_f32 v132, v73, s6, -v117
	v_mul_f32_e32 v135, 0x3f68dda4, v75
	v_add_f32_e32 v132, v132, v136
	v_mov_b32_e32 v136, v135
	v_fmac_f32_e32 v117, 0x3ed4b147, v73
	v_fmac_f32_e32 v136, 0x3ed4b147, v74
	v_add_f32_e32 v117, v117, v134
	v_fma_f32 v134, v74, s6, -v135
	v_mul_f32_e32 v135, 0xbf0a6770, v76
	v_add_f32_e32 v136, v136, v139
	v_add_f32_e32 v134, v134, v137
	v_fma_f32 v137, v73, s14, -v135
	v_mul_f32_e32 v139, 0xbf0a6770, v75
	v_fmac_f32_e32 v135, 0x3f575c64, v73
	v_mul_f32_e32 v76, 0xbf4178ce, v76
	v_add_f32_e32 v137, v137, v141
	v_mov_b32_e32 v141, v139
	v_add_f32_e32 v135, v135, v138
	v_fma_f32 v138, v74, s14, -v139
	v_fma_f32 v139, v73, s15, -v76
	v_mul_f32_e32 v75, 0xbf4178ce, v75
	v_fmac_f32_e32 v76, 0xbf27a4f4, v73
	v_add_f32_e32 v71, v76, v71
	v_fma_f32 v73, v74, s15, -v75
	v_sub_f32_e32 v76, v142, v148
	v_add_f32_e32 v138, v138, v143
	v_mov_b32_e32 v143, v75
	v_add_f32_e32 v72, v73, v72
	v_add_f32_e32 v73, v79, v82
	v_sub_f32_e32 v75, v79, v82
	v_mul_f32_e32 v79, 0xbf4178ce, v76
	v_fma_f32 v82, v73, s15, -v79
	v_fmac_f32_e32 v141, 0x3f575c64, v74
	v_fmac_f32_e32 v143, 0xbf27a4f4, v74
	v_add_f32_e32 v74, v142, v148
	v_add_f32_e32 v82, v82, v84
	v_mul_f32_e32 v84, 0xbf4178ce, v75
	v_fmac_f32_e32 v79, 0xbf27a4f4, v73
	v_mov_b32_e32 v142, v84
	v_add_f32_e32 v79, v79, v83
	v_fma_f32 v83, v74, s15, -v84
	v_mul_f32_e32 v84, 0x3f7d64f0, v76
	v_add_f32_e32 v83, v83, v85
	v_fma_f32 v85, v73, s7, -v84
	v_fmac_f32_e32 v142, 0xbf27a4f4, v74
	v_add_f32_e32 v85, v85, v90
	v_mul_f32_e32 v90, 0x3f7d64f0, v75
	v_fmac_f32_e32 v84, 0xbe11bafb, v73
	v_add_f32_e32 v118, v142, v118
	v_mov_b32_e32 v142, v90
	v_add_f32_e32 v84, v84, v86
	v_fma_f32 v86, v74, s7, -v90
	v_mul_f32_e32 v90, 0xbf0a6770, v76
	v_add_f32_e32 v86, v86, v91
	v_fma_f32 v91, v73, s14, -v90
	v_add_f32_e32 v91, v91, v132
	v_mul_f32_e32 v132, 0xbf0a6770, v75
	v_fmac_f32_e32 v90, 0x3f575c64, v73
	v_fmac_f32_e32 v142, 0xbe11bafb, v74
	v_add_f32_e32 v90, v90, v117
	v_fma_f32 v117, v74, s14, -v132
	v_add_f32_e32 v133, v142, v133
	v_mov_b32_e32 v142, v132
	v_add_f32_e32 v132, v117, v134
	v_mul_f32_e32 v117, 0xbe903f40, v76
	v_fma_f32 v134, v73, s16, -v117
	v_add_f32_e32 v134, v134, v137
	v_mul_f32_e32 v137, 0xbe903f40, v75
	v_fmac_f32_e32 v117, 0xbf75a155, v73
	v_add_f32_e32 v145, v145, v153
	v_fmac_f32_e32 v142, 0x3f575c64, v74
	v_add_f32_e32 v135, v117, v135
	v_fma_f32 v117, v74, s16, -v137
	v_mul_f32_e32 v76, 0x3f68dda4, v76
	v_add_f32_e32 v147, v147, v151
	v_add_f32_e32 v139, v139, v145
	;; [unrolled: 1-line block ×3, first 2 shown]
	v_mov_b32_e32 v142, v137
	v_add_f32_e32 v137, v117, v138
	v_fma_f32 v117, v73, s6, -v76
	v_mul_f32_e32 v75, 0x3f68dda4, v75
	v_add_f32_e32 v149, v149, v154
	v_add_f32_e32 v141, v141, v147
	v_fmac_f32_e32 v142, 0xbf75a155, v74
	v_add_f32_e32 v138, v117, v139
	v_mov_b32_e32 v117, v75
	v_fmac_f32_e32 v76, 0x3ed4b147, v73
	v_add_f32_e32 v147, v144, v146
	v_sub_f32_e32 v144, v144, v146
	v_add_f32_e32 v143, v143, v149
	v_add_f32_e32 v141, v142, v141
	v_fmac_f32_e32 v117, 0x3ed4b147, v74
	v_add_f32_e32 v142, v76, v71
	v_fma_f32 v71, v74, s6, -v75
	v_add_f32_e32 v145, v80, v81
	v_sub_f32_e32 v148, v80, v81
	v_mul_f32_e32 v73, 0xbe903f40, v144
	v_add_f32_e32 v139, v117, v143
	v_add_f32_e32 v143, v71, v72
	v_fma_f32 v71, v145, s16, -v73
	v_mul_f32_e32 v74, 0xbe903f40, v148
	v_fmac_f32_e32 v73, 0xbf75a155, v145
	v_mul_f32_e32 v76, 0x3f0a6770, v148
	v_mov_b32_e32 v72, v74
	v_add_f32_e32 v117, v73, v79
	v_fma_f32 v73, v147, s16, -v74
	v_mov_b32_e32 v74, v76
	v_add_f32_e32 v71, v71, v82
	v_fmac_f32_e32 v72, 0xbf75a155, v147
	v_mul_f32_e32 v75, 0x3f0a6770, v144
	v_fmac_f32_e32 v74, 0x3f575c64, v147
	v_fma_f32 v76, v147, s14, -v76
	v_mul_f32_e32 v81, 0xbf4178ce, v144
	v_mul_f32_e32 v82, 0xbf4178ce, v148
	v_add_f32_e32 v72, v72, v118
	v_add_f32_e32 v118, v73, v83
	v_fma_f32 v73, v145, s14, -v75
	v_add_f32_e32 v74, v74, v133
	v_fmac_f32_e32 v75, 0x3f575c64, v145
	v_add_f32_e32 v76, v76, v86
	v_fma_f32 v79, v145, s15, -v81
	v_mov_b32_e32 v80, v82
	v_fma_f32 v82, v147, s15, -v82
	v_mul_f32_e32 v86, 0x3f68dda4, v148
	v_mul_f32_e32 v133, 0xbf7d64f0, v148
	v_add_f32_e32 v73, v73, v85
	v_add_f32_e32 v75, v75, v84
	;; [unrolled: 1-line block ×3, first 2 shown]
	v_fmac_f32_e32 v81, 0xbf27a4f4, v145
	v_add_f32_e32 v82, v82, v132
	v_mul_f32_e32 v85, 0x3f68dda4, v144
	v_mov_b32_e32 v84, v86
	v_mul_f32_e32 v132, 0xbf7d64f0, v144
	v_mov_b32_e32 v91, v133
	v_fmac_f32_e32 v80, 0xbf27a4f4, v147
	v_add_f32_e32 v81, v81, v90
	v_fma_f32 v83, v145, s6, -v85
	v_fmac_f32_e32 v84, 0x3ed4b147, v147
	v_fmac_f32_e32 v85, 0x3ed4b147, v145
	v_fma_f32 v86, v147, s6, -v86
	v_fma_f32 v90, v145, s7, -v132
	v_fmac_f32_e32 v91, 0xbe11bafb, v147
	v_fmac_f32_e32 v132, 0xbe11bafb, v145
	v_fma_f32 v133, v147, s7, -v133
	s_movk_i32 s6, 0x3000
	v_add_f32_e32 v80, v80, v136
	v_add_f32_e32 v83, v83, v134
	;; [unrolled: 1-line block ×9, first 2 shown]
	ds_write2_b64 v119, v[68:69], v[71:72] offset1:182
	ds_write2_b64 v78, v[73:74], v[79:80] offset0:44 offset1:226
	ds_write2_b64 v77, v[83:84], v[90:91] offset0:24 offset1:206
	;; [unrolled: 1-line block ×4, first 2 shown]
	ds_write_b64 v119, v[117:118] offset:14560
	v_add_co_u32_e32 v68, vcc, s6, v120
	v_addc_co_u32_e32 v69, vcc, 0, v70, vcc
	s_waitcnt lgkmcnt(0)
	s_barrier
	global_load_dwordx2 v[74:75], v[68:69], off offset:3728
	s_movk_i32 s7, 0x5000
	v_add_co_u32_e32 v71, vcc, s7, v120
	s_movk_i32 s6, 0x3e90
	v_addc_co_u32_e32 v72, vcc, 0, v70, vcc
	v_add_co_u32_e32 v68, vcc, s6, v120
	global_load_dwordx2 v[79:80], v[71:72], off offset:3544
	v_addc_co_u32_e32 v69, vcc, 0, v70, vcc
	global_load_dwordx2 v[81:82], v[68:69], off offset:1456
	s_movk_i32 s6, 0x6000
	v_add_co_u32_e32 v76, vcc, s6, v120
	v_addc_co_u32_e32 v77, vcc, 0, v70, vcc
	global_load_dwordx2 v[83:84], v[76:77], off offset:904
	global_load_dwordx2 v[85:86], v[71:72], off offset:1360
                                        ; kill: killed $vgpr71 killed $vgpr72
	global_load_dwordx2 v[90:91], v[68:69], off offset:2912
	global_load_dwordx2 v[132:133], v[76:77], off offset:2360
	s_movk_i32 s6, 0x4000
	v_add_co_u32_e32 v71, vcc, s6, v120
	v_addc_co_u32_e32 v72, vcc, 0, v70, vcc
	global_load_dwordx2 v[134:135], v[71:72], off offset:4000
	global_load_dwordx2 v[136:137], v[76:77], off offset:3816
	v_add_co_u32_e32 v71, vcc, 0x7000, v120
	v_addc_co_u32_e32 v72, vcc, 0, v70, vcc
	global_load_dwordx2 v[138:139], v[71:72], off offset:1176
	ds_read2_b64 v[70:73], v119 offset1:182
	s_waitcnt vmcnt(9) lgkmcnt(0)
	v_mul_f32_e32 v76, v71, v75
	v_mul_f32_e32 v77, v70, v75
	v_fma_f32 v76, v70, v74, -v76
	v_fmac_f32_e32 v77, v71, v74
	ds_write_b64 v119, v[76:77]
	v_add_u32_e32 v70, 0x1e00, v119
	ds_read2_b64 v[74:77], v70 offset0:41 offset1:223
	s_waitcnt vmcnt(8) lgkmcnt(0)
	v_mul_f32_e32 v71, v75, v80
	v_fma_f32 v140, v74, v79, -v71
	v_mul_f32_e32 v141, v74, v80
	s_waitcnt vmcnt(7)
	v_mul_f32_e32 v71, v73, v82
	v_mul_f32_e32 v143, v72, v82
	v_fmac_f32_e32 v141, v75, v79
	v_fma_f32 v142, v72, v81, -v71
	v_fmac_f32_e32 v143, v73, v81
	s_waitcnt vmcnt(6)
	v_mul_f32_e32 v75, v77, v84
	ds_read2_b64 v[71:74], v78 offset0:44 offset1:226
	v_fma_f32 v75, v76, v83, -v75
	v_mul_f32_e32 v76, v76, v84
	v_add_u32_e32 v79, 0x2a00, v119
	v_fmac_f32_e32 v76, v77, v83
	ds_read2_b64 v[80:83], v79 offset0:21 offset1:203
	ds_write2_b64 v70, v[140:141], v[75:76] offset0:41 offset1:223
	s_waitcnt vmcnt(4) lgkmcnt(2)
	v_mul_f32_e32 v75, v72, v91
	v_mul_f32_e32 v76, v71, v91
	v_fma_f32 v75, v71, v90, -v75
	v_fmac_f32_e32 v76, v72, v90
	v_add_u32_e32 v71, 0x400, v119
	ds_write2_b64 v71, v[142:143], v[75:76] offset0:54 offset1:236
	s_waitcnt vmcnt(3) lgkmcnt(2)
	v_mul_f32_e32 v71, v81, v133
	v_mul_f32_e32 v72, v80, v133
	s_waitcnt vmcnt(2)
	v_mul_f32_e32 v75, v74, v135
	v_mul_f32_e32 v76, v73, v135
	v_fma_f32 v71, v80, v132, -v71
	v_fmac_f32_e32 v72, v81, v132
	v_fma_f32 v75, v73, v134, -v75
	v_fmac_f32_e32 v76, v74, v134
	s_waitcnt vmcnt(1)
	v_mul_f32_e32 v73, v83, v137
	ds_read_b64 v[80:81], v119 offset:5824
	v_mul_f32_e32 v74, v82, v137
	v_fma_f32 v73, v82, v136, -v73
	v_fmac_f32_e32 v74, v83, v136
	ds_write2_b64 v79, v[71:72], v[73:74] offset0:21 offset1:203
	ds_read_b64 v[71:72], v119 offset:13832
	s_waitcnt lgkmcnt(2)
	v_mul_f32_e32 v73, v81, v86
	v_mul_f32_e32 v74, v80, v86
	v_fma_f32 v73, v80, v85, -v73
	v_fmac_f32_e32 v74, v81, v85
	v_add_u32_e32 v77, 0x1000, v119
	ds_write2_b64 v77, v[75:76], v[73:74] offset0:34 offset1:216
	s_waitcnt vmcnt(0) lgkmcnt(1)
	v_mul_f32_e32 v73, v72, v139
	v_mul_f32_e32 v74, v71, v139
	v_fma_f32 v73, v71, v138, -v73
	v_fmac_f32_e32 v74, v72, v138
	ds_write_b64 v119, v[73:74] offset:13832
	s_and_saveexec_b64 s[6:7], s[0:1]
	s_cbranch_execz .LBB0_17
; %bb.16:
	v_add_co_u32_e32 v71, vcc, 0x1000, v68
	v_addc_co_u32_e32 v72, vcc, 0, v69, vcc
	v_add_co_u32_e32 v68, vcc, 0x3000, v68
	global_load_dwordx2 v[71:72], v[71:72], off offset:3184
	v_addc_co_u32_e32 v69, vcc, 0, v69, vcc
	global_load_dwordx2 v[68:69], v[68:69], off offset:3000
	ds_read_b64 v[73:74], v119 offset:7280
	ds_read_b64 v[75:76], v119 offset:15288
	s_waitcnt vmcnt(1) lgkmcnt(1)
	v_mul_f32_e32 v77, v74, v72
	v_mul_f32_e32 v81, v73, v72
	v_fma_f32 v80, v73, v71, -v77
	v_fmac_f32_e32 v81, v74, v71
	s_waitcnt vmcnt(0) lgkmcnt(0)
	v_mul_f32_e32 v71, v76, v69
	v_mul_f32_e32 v72, v75, v69
	v_fma_f32 v71, v75, v68, -v71
	v_fmac_f32_e32 v72, v76, v68
	ds_write_b64 v119, v[80:81] offset:7280
	ds_write_b64 v119, v[71:72] offset:15288
.LBB0_17:
	s_or_b64 exec, exec, s[6:7]
	s_waitcnt lgkmcnt(0)
	s_barrier
	ds_read2_b64 v[74:77], v119 offset1:182
	ds_read2_b64 v[70:73], v70 offset0:41 offset1:223
	ds_read2_b64 v[82:85], v78 offset0:44 offset1:226
	;; [unrolled: 1-line block ×3, first 2 shown]
	ds_read_b64 v[90:91], v119 offset:5824
	ds_read_b64 v[86:87], v119 offset:13832
	v_add_u32_e32 v133, 0x16c0, v127
	v_add_u32_e32 v132, 0x2220, v127
	;; [unrolled: 1-line block ×3, first 2 shown]
	s_and_saveexec_b64 s[6:7], s[0:1]
	s_cbranch_execz .LBB0_19
; %bb.18:
	ds_read_b64 v[117:118], v119 offset:7280
	ds_read_b64 v[88:89], v119 offset:15288
.LBB0_19:
	s_or_b64 exec, exec, s[6:7]
	s_waitcnt lgkmcnt(4)
	v_sub_f32_e32 v70, v74, v70
	v_sub_f32_e32 v71, v75, v71
	v_fma_f32 v68, v74, 2.0, -v70
	v_fma_f32 v69, v75, 2.0, -v71
	v_sub_f32_e32 v74, v76, v72
	v_sub_f32_e32 v75, v77, v73
	s_waitcnt lgkmcnt(2)
	v_sub_f32_e32 v78, v82, v78
	v_sub_f32_e32 v79, v83, v79
	v_fma_f32 v72, v76, 2.0, -v74
	v_fma_f32 v73, v77, 2.0, -v75
	;; [unrolled: 1-line block ×4, first 2 shown]
	v_sub_f32_e32 v82, v84, v80
	v_sub_f32_e32 v83, v85, v81
	s_waitcnt lgkmcnt(0)
	v_sub_f32_e32 v86, v90, v86
	v_sub_f32_e32 v87, v91, v87
	v_fma_f32 v80, v84, 2.0, -v82
	v_fma_f32 v81, v85, 2.0, -v83
	;; [unrolled: 1-line block ×4, first 2 shown]
	v_sub_f32_e32 v90, v117, v88
	v_sub_f32_e32 v91, v118, v89
	v_fma_f32 v88, v117, 2.0, -v90
	v_fma_f32 v89, v118, 2.0, -v91
	s_barrier
	ds_write_b128 v125, v[68:71]
	ds_write_b128 v126, v[72:75]
	;; [unrolled: 1-line block ×5, first 2 shown]
	s_and_saveexec_b64 s[6:7], s[0:1]
	s_cbranch_execz .LBB0_21
; %bb.20:
	ds_write_b128 v124, v[88:91]
.LBB0_21:
	s_or_b64 exec, exec, s[6:7]
	s_waitcnt lgkmcnt(0)
	s_barrier
	s_and_saveexec_b64 s[6:7], s[2:3]
	s_cbranch_execz .LBB0_23
; %bb.22:
	v_add_u32_e32 v72, 0x800, v119
	v_add_u32_e32 v76, 0x1200, v119
	;; [unrolled: 1-line block ×5, first 2 shown]
	ds_read2_b64 v[68:71], v119 offset1:154
	ds_read2_b64 v[72:75], v72 offset0:52 offset1:206
	ds_read2_b64 v[76:79], v76 offset0:40 offset1:194
	;; [unrolled: 1-line block ×5, first 2 shown]
	ds_read_b64 v[115:116], v119 offset:14784
.LBB0_23:
	s_or_b64 exec, exec, s[6:7]
	s_waitcnt lgkmcnt(6)
	v_mul_f32_e32 v117, v17, v71
	v_mul_f32_e32 v17, v17, v70
	v_fmac_f32_e32 v117, v16, v70
	v_fma_f32 v70, v16, v71, -v17
	s_waitcnt lgkmcnt(5)
	v_mul_f32_e32 v17, v19, v72
	v_mul_f32_e32 v16, v19, v73
	v_fma_f32 v71, v18, v73, -v17
	v_mul_f32_e32 v17, v9, v75
	v_mul_f32_e32 v9, v9, v74
	v_fmac_f32_e32 v16, v18, v72
	v_fmac_f32_e32 v17, v8, v74
	v_fma_f32 v73, v8, v75, -v9
	s_waitcnt lgkmcnt(4)
	v_mul_f32_e32 v8, v11, v76
	v_mul_f32_e32 v19, v5, v79
	;; [unrolled: 1-line block ×3, first 2 shown]
	s_waitcnt lgkmcnt(3)
	v_mul_f32_e32 v72, v7, v81
	v_mul_f32_e32 v74, v1, v83
	;; [unrolled: 1-line block ×4, first 2 shown]
	v_fma_f32 v75, v10, v77, -v8
	v_fmac_f32_e32 v19, v4, v78
	v_fma_f32 v77, v4, v79, -v5
	v_fmac_f32_e32 v72, v6, v80
	v_mul_f32_e32 v4, v7, v80
	v_fmac_f32_e32 v74, v0, v82
	v_fma_f32 v80, v0, v83, -v1
	s_waitcnt lgkmcnt(2)
	v_mul_f32_e32 v0, v3, v84
	v_fma_f32 v79, v6, v81, -v4
	v_fma_f32 v81, v2, v85, -v0
	v_mul_f32_e32 v78, v21, v87
	v_mul_f32_e32 v0, v21, v86
	v_fmac_f32_e32 v78, v20, v86
	v_fma_f32 v82, v20, v87, -v0
	s_waitcnt lgkmcnt(1)
	v_mul_f32_e32 v20, v23, v89
	v_mul_f32_e32 v0, v23, v88
	v_fmac_f32_e32 v20, v22, v88
	v_fma_f32 v22, v22, v89, -v0
	v_mul_f32_e32 v21, v13, v91
	v_mul_f32_e32 v0, v13, v90
	v_fmac_f32_e32 v21, v12, v90
	v_fma_f32 v13, v12, v91, -v0
	s_waitcnt lgkmcnt(0)
	v_mul_f32_e32 v12, v15, v116
	v_mul_f32_e32 v0, v15, v115
	v_fmac_f32_e32 v12, v14, v115
	v_fma_f32 v14, v14, v116, -v0
	v_sub_f32_e32 v1, v70, v14
	v_fmac_f32_e32 v18, v10, v76
	v_mul_f32_e32 v76, v3, v85
	v_add_f32_e32 v148, v12, v117
	v_add_f32_e32 v0, v14, v70
	s_mov_b32 s14, 0x3f62ad3f
	v_mul_f32_e32 v199, 0xbeedf032, v1
	v_sub_f32_e32 v116, v71, v13
	v_fmac_f32_e32 v76, v2, v84
	v_mul_f32_e32 v23, 0x3f62ad3f, v0
	v_fma_f32 v2, v148, s14, -v199
	s_mov_b32 s7, 0x3f116cb1
	v_add_f32_e32 v160, v21, v16
	v_add_f32_e32 v91, v13, v71
	v_mul_f32_e32 v85, 0xbf52af12, v116
	v_sub_f32_e32 v149, v117, v12
	v_add_f32_e32 v2, v68, v2
	v_mov_b32_e32 v3, v23
	v_mul_f32_e32 v86, 0x3f116cb1, v91
	v_fma_f32 v89, v160, s7, -v85
	v_fmac_f32_e32 v3, 0xbeedf032, v149
	v_sub_f32_e32 v163, v16, v21
	v_add_f32_e32 v2, v89, v2
	v_mov_b32_e32 v89, v86
	v_add_f32_e32 v3, v69, v3
	v_mul_f32_e32 v83, 0xbf52af12, v1
	v_fmac_f32_e32 v89, 0xbf52af12, v163
	v_mul_f32_e32 v84, 0x3f116cb1, v0
	v_fma_f32 v4, v148, s7, -v83
	s_mov_b32 s15, 0xbeb58ec6
	v_add_f32_e32 v3, v89, v3
	v_mul_f32_e32 v89, 0xbf6f5d39, v116
	v_add_f32_e32 v4, v68, v4
	v_mov_b32_e32 v5, v84
	v_mul_f32_e32 v90, 0xbeb58ec6, v91
	v_fma_f32 v124, v160, s15, -v89
	v_fmac_f32_e32 v5, 0xbf52af12, v149
	v_add_f32_e32 v4, v124, v4
	v_mov_b32_e32 v124, v90
	v_add_f32_e32 v5, v69, v5
	s_mov_b32 s6, 0x3df6dbef
	v_mul_f32_e32 v87, 0xbf7e222b, v1
	v_fmac_f32_e32 v124, 0xbf6f5d39, v163
	v_mul_f32_e32 v88, 0x3df6dbef, v0
	v_fma_f32 v6, v148, s6, -v87
	s_mov_b32 s17, 0xbf788fa5
	v_add_f32_e32 v5, v124, v5
	v_mul_f32_e32 v124, 0xbe750f2a, v116
	v_add_f32_e32 v6, v68, v6
	v_mov_b32_e32 v7, v88
	v_mul_f32_e32 v125, 0xbf788fa5, v91
	v_fma_f32 v126, v160, s17, -v124
	v_fmac_f32_e32 v7, 0xbf7e222b, v149
	v_mul_f32_e32 v115, 0xbf6f5d39, v1
	v_add_f32_e32 v6, v126, v6
	v_mov_b32_e32 v126, v125
	v_add_f32_e32 v7, v69, v7
	v_mul_f32_e32 v118, 0xbeb58ec6, v0
	v_fma_f32 v8, v148, s15, -v115
	s_mov_b32 s16, 0xbf3f9e67
	v_fmac_f32_e32 v126, 0xbe750f2a, v163
	v_mul_f32_e32 v135, 0x3f29c268, v116
	v_add_f32_e32 v8, v68, v8
	v_mov_b32_e32 v9, v118
	v_mul_f32_e32 v139, 0xbe750f2a, v1
	v_add_f32_e32 v7, v126, v7
	v_mul_f32_e32 v137, 0xbf3f9e67, v91
	v_fma_f32 v126, v160, s16, -v135
	v_fmac_f32_e32 v9, 0xbf6f5d39, v149
	v_mul_f32_e32 v127, 0xbf29c268, v1
	v_mul_f32_e32 v134, 0xbf3f9e67, v0
	;; [unrolled: 1-line block ×3, first 2 shown]
	v_fma_f32 v0, v148, s17, -v139
	v_add_f32_e32 v8, v126, v8
	v_mov_b32_e32 v126, v137
	v_mul_f32_e32 v153, 0x3eedf032, v116
	v_add_f32_e32 v9, v69, v9
	v_fma_f32 v10, v148, s16, -v127
	v_add_f32_e32 v0, v68, v0
	v_mov_b32_e32 v1, v142
	v_fmac_f32_e32 v126, 0x3f29c268, v163
	v_mul_f32_e32 v143, 0x3f7e222b, v116
	v_mul_f32_e32 v146, 0x3df6dbef, v91
	v_mul_f32_e32 v156, 0x3f62ad3f, v91
	v_fma_f32 v91, v160, s14, -v153
	v_add_f32_e32 v10, v68, v10
	v_mov_b32_e32 v11, v134
	v_fmac_f32_e32 v1, 0xbe750f2a, v149
	v_add_f32_e32 v9, v126, v9
	v_fma_f32 v126, v160, s6, -v143
	v_add_f32_e32 v0, v91, v0
	v_mov_b32_e32 v91, v156
	v_fmac_f32_e32 v11, 0xbf29c268, v149
	v_add_f32_e32 v1, v69, v1
	v_add_f32_e32 v10, v126, v10
	v_mov_b32_e32 v126, v146
	v_fmac_f32_e32 v91, 0x3eedf032, v163
	v_sub_f32_e32 v136, v73, v22
	v_add_f32_e32 v11, v69, v11
	v_fmac_f32_e32 v126, 0x3f7e222b, v163
	v_add_f32_e32 v1, v91, v1
	v_add_f32_e32 v172, v20, v17
	;; [unrolled: 1-line block ×3, first 2 shown]
	v_mul_f32_e32 v91, 0xbf7e222b, v136
	v_add_f32_e32 v11, v126, v11
	v_mul_f32_e32 v116, 0x3df6dbef, v133
	v_fma_f32 v126, v172, s6, -v91
	v_sub_f32_e32 v173, v17, v20
	v_add_f32_e32 v2, v126, v2
	v_mov_b32_e32 v126, v116
	v_fmac_f32_e32 v126, 0xbf7e222b, v173
	v_add_f32_e32 v3, v126, v3
	v_mul_f32_e32 v126, 0xbe750f2a, v136
	v_mul_f32_e32 v132, 0xbf788fa5, v133
	v_fma_f32 v138, v172, s17, -v126
	v_add_f32_e32 v4, v138, v4
	v_mov_b32_e32 v138, v132
	v_fmac_f32_e32 v138, 0xbe750f2a, v173
	v_add_f32_e32 v5, v138, v5
	v_mul_f32_e32 v138, 0x3f6f5d39, v136
	v_mul_f32_e32 v140, 0xbeb58ec6, v133
	v_fma_f32 v141, v172, s15, -v138
	v_add_f32_e32 v6, v141, v6
	v_mov_b32_e32 v141, v140
	v_fmac_f32_e32 v141, 0x3f6f5d39, v173
	v_mul_f32_e32 v147, 0x3eedf032, v136
	v_add_f32_e32 v7, v141, v7
	v_mul_f32_e32 v151, 0x3f62ad3f, v133
	v_fma_f32 v141, v172, s14, -v147
	v_add_f32_e32 v8, v141, v8
	v_mov_b32_e32 v141, v151
	v_mul_f32_e32 v167, 0xbf29c268, v136
	v_fmac_f32_e32 v141, 0x3eedf032, v173
	v_mul_f32_e32 v157, 0xbf52af12, v136
	v_mul_f32_e32 v161, 0x3f116cb1, v133
	;; [unrolled: 1-line block ×3, first 2 shown]
	v_fma_f32 v133, v172, s16, -v167
	v_add_f32_e32 v9, v141, v9
	v_fma_f32 v141, v172, s7, -v157
	v_add_f32_e32 v0, v133, v0
	v_mov_b32_e32 v133, v170
	v_add_f32_e32 v10, v141, v10
	v_mov_b32_e32 v141, v161
	v_fmac_f32_e32 v133, 0xbf29c268, v173
	v_sub_f32_e32 v150, v75, v82
	v_fmac_f32_e32 v141, 0xbf52af12, v173
	v_add_f32_e32 v1, v133, v1
	v_add_f32_e32 v180, v78, v18
	;; [unrolled: 1-line block ×3, first 2 shown]
	v_mul_f32_e32 v133, 0xbf6f5d39, v150
	v_add_f32_e32 v11, v141, v11
	v_mul_f32_e32 v136, 0xbeb58ec6, v145
	v_fma_f32 v141, v180, s15, -v133
	v_sub_f32_e32 v181, v18, v78
	v_add_f32_e32 v2, v141, v2
	v_mov_b32_e32 v141, v136
	v_fmac_f32_e32 v141, 0xbf6f5d39, v181
	v_add_f32_e32 v3, v141, v3
	v_mul_f32_e32 v141, 0x3f29c268, v150
	v_mul_f32_e32 v144, 0xbf3f9e67, v145
	v_fma_f32 v152, v180, s16, -v141
	v_add_f32_e32 v4, v152, v4
	v_mov_b32_e32 v152, v144
	v_fmac_f32_e32 v152, 0x3f29c268, v181
	v_add_f32_e32 v5, v152, v5
	v_mul_f32_e32 v152, 0x3eedf032, v150
	v_mul_f32_e32 v154, 0x3f62ad3f, v145
	v_fma_f32 v155, v180, s14, -v152
	v_add_f32_e32 v6, v155, v6
	v_mov_b32_e32 v155, v154
	v_fmac_f32_e32 v155, 0x3eedf032, v181
	v_mul_f32_e32 v162, 0xbf7e222b, v150
	v_add_f32_e32 v7, v155, v7
	v_mul_f32_e32 v165, 0x3df6dbef, v145
	v_fma_f32 v155, v180, s6, -v162
	v_add_f32_e32 v8, v155, v8
	v_mov_b32_e32 v155, v165
	v_mul_f32_e32 v179, 0x3f52af12, v150
	v_fmac_f32_e32 v155, 0xbf7e222b, v181
	v_mul_f32_e32 v171, 0x3e750f2a, v150
	v_mul_f32_e32 v175, 0xbf788fa5, v145
	;; [unrolled: 1-line block ×3, first 2 shown]
	v_fma_f32 v145, v180, s7, -v179
	v_add_f32_e32 v9, v155, v9
	v_fma_f32 v155, v180, s17, -v171
	v_add_f32_e32 v0, v145, v0
	v_mov_b32_e32 v145, v183
	v_add_f32_e32 v10, v155, v10
	v_mov_b32_e32 v155, v175
	v_fmac_f32_e32 v145, 0x3f52af12, v181
	v_sub_f32_e32 v164, v77, v81
	v_fmac_f32_e32 v155, 0x3e750f2a, v181
	v_add_f32_e32 v1, v145, v1
	v_add_f32_e32 v188, v76, v19
	;; [unrolled: 1-line block ×3, first 2 shown]
	v_mul_f32_e32 v145, 0xbf29c268, v164
	v_add_f32_e32 v11, v155, v11
	v_mul_f32_e32 v150, 0xbf3f9e67, v159
	v_fma_f32 v155, v188, s16, -v145
	v_sub_f32_e32 v189, v19, v76
	v_add_f32_e32 v2, v155, v2
	v_mov_b32_e32 v155, v150
	v_fmac_f32_e32 v155, 0xbf29c268, v189
	v_add_f32_e32 v3, v155, v3
	v_mul_f32_e32 v155, 0x3f7e222b, v164
	v_mul_f32_e32 v158, 0x3df6dbef, v159
	v_fma_f32 v166, v188, s6, -v155
	v_add_f32_e32 v4, v166, v4
	v_mov_b32_e32 v166, v158
	v_fmac_f32_e32 v166, 0x3f7e222b, v189
	v_add_f32_e32 v5, v166, v5
	v_mul_f32_e32 v166, 0xbf52af12, v164
	v_mul_f32_e32 v168, 0x3f116cb1, v159
	v_fma_f32 v169, v188, s7, -v166
	v_add_f32_e32 v6, v169, v6
	v_mov_b32_e32 v169, v168
	v_fmac_f32_e32 v169, 0xbf52af12, v189
	v_mul_f32_e32 v176, 0x3e750f2a, v164
	v_add_f32_e32 v7, v169, v7
	v_mul_f32_e32 v177, 0xbf788fa5, v159
	v_fma_f32 v169, v188, s17, -v176
	v_add_f32_e32 v192, v169, v8
	v_mov_b32_e32 v8, v177
	v_fmac_f32_e32 v8, 0x3e750f2a, v189
	v_mul_f32_e32 v184, 0x3eedf032, v164
	v_add_f32_e32 v193, v8, v9
	;; [unrolled: 7-line block ×3, first 2 shown]
	v_mul_f32_e32 v191, 0xbeb58ec6, v159
	v_fma_f32 v8, v188, s15, -v190
	v_add_f32_e32 v0, v8, v0
	v_mov_b32_e32 v8, v191
	v_sub_f32_e32 v196, v79, v80
	v_fmac_f32_e32 v8, 0xbf6f5d39, v189
	v_add_f32_e32 v194, v74, v72
	v_add_f32_e32 v197, v80, v79
	v_mul_f32_e32 v159, 0xbe750f2a, v196
	v_add_f32_e32 v1, v8, v1
	v_mul_f32_e32 v164, 0xbf788fa5, v197
	v_fma_f32 v8, v194, s17, -v159
	v_sub_f32_e32 v195, v72, v74
	v_add_f32_e32 v2, v8, v2
	v_mov_b32_e32 v8, v164
	v_fmac_f32_e32 v8, 0xbe750f2a, v195
	v_mul_f32_e32 v169, 0x3eedf032, v196
	v_add_f32_e32 v3, v8, v3
	v_mul_f32_e32 v174, 0x3f62ad3f, v197
	v_fma_f32 v8, v194, s14, -v169
	v_add_f32_e32 v4, v8, v4
	v_mov_b32_e32 v8, v174
	v_fmac_f32_e32 v8, 0x3eedf032, v195
	v_mul_f32_e32 v178, 0xbf29c268, v196
	v_add_f32_e32 v5, v8, v5
	v_mul_f32_e32 v182, 0xbf3f9e67, v197
	v_fma_f32 v8, v194, s16, -v178
	v_add_f32_e32 v8, v8, v6
	v_mov_b32_e32 v6, v182
	v_fmac_f32_e32 v6, 0xbf29c268, v195
	v_mul_f32_e32 v186, 0x3f52af12, v196
	v_mul_f32_e32 v187, 0x3f116cb1, v197
	v_add_f32_e32 v9, v6, v7
	v_fma_f32 v6, v194, s7, -v186
	v_mov_b32_e32 v7, v187
	v_add_f32_e32 v6, v6, v192
	v_fmac_f32_e32 v7, 0x3f52af12, v195
	v_mul_f32_e32 v192, 0xbf6f5d39, v196
	v_add_f32_e32 v7, v7, v193
	v_mul_f32_e32 v193, 0xbeb58ec6, v197
	v_fma_f32 v198, v194, s15, -v192
	v_add_f32_e32 v10, v198, v10
	v_mov_b32_e32 v198, v193
	v_fmac_f32_e32 v198, 0xbf6f5d39, v195
	v_mul_f32_e32 v196, 0x3f7e222b, v196
	v_add_f32_e32 v11, v198, v11
	v_mul_f32_e32 v197, 0x3df6dbef, v197
	v_fma_f32 v198, v194, s6, -v196
	v_add_f32_e32 v0, v198, v0
	v_mov_b32_e32 v198, v197
	v_fmac_f32_e32 v198, 0x3f7e222b, v195
	v_add_f32_e32 v1, v198, v1
	s_barrier
	s_and_saveexec_b64 s[6:7], s[2:3]
	s_cbranch_execz .LBB0_25
; %bb.24:
	v_mul_f32_e32 v198, 0xbeedf032, v149
	v_mul_f32_e32 v209, 0xbf52af12, v163
	v_sub_f32_e32 v23, v23, v198
	v_mul_f32_e32 v15, 0x3f62ad3f, v148
	v_mul_f32_e32 v219, 0xbf7e222b, v173
	v_add_f32_e32 v23, v69, v23
	v_sub_f32_e32 v86, v86, v209
	buffer_store_dword v15, off, s[24:27], 0 ; 4-byte Folded Spill
	v_mul_f32_e32 v15, 0x3f116cb1, v160
	v_mul_f32_e32 v229, 0xbf6f5d39, v181
	v_add_f32_e32 v23, v86, v23
	v_sub_f32_e32 v86, v116, v219
	buffer_store_dword v15, off, s[24:27], 0 offset:4 ; 4-byte Folded Spill
	v_mul_f32_e32 v15, 0xbf29c268, v189
	v_add_f32_e32 v23, v86, v23
	v_sub_f32_e32 v86, v136, v229
	v_mul_f32_e32 v249, 0xbe750f2a, v195
	v_add_f32_e32 v23, v86, v23
	v_sub_f32_e32 v86, v150, v15
	v_add_f32_e32 v23, v86, v23
	v_sub_f32_e32 v86, v164, v249
	buffer_load_dword v15, off, s[24:27], 0 ; 4-byte Folded Reload
	v_add_f32_e32 v86, v86, v23
	buffer_load_dword v23, off, s[24:27], 0 offset:4 ; 4-byte Folded Reload
	v_mul_f32_e32 v201, 0xbf52af12, v149
	v_mul_f32_e32 v203, 0xbf7e222b, v149
	;; [unrolled: 1-line block ×10, first 2 shown]
	v_sub_f32_e32 v142, v142, v149
	v_mul_f32_e32 v221, 0xbe750f2a, v173
	v_mul_f32_e32 v223, 0x3f6f5d39, v173
	v_mul_f32_e32 v225, 0x3eedf032, v173
	v_mul_f32_e32 v227, 0xbf52af12, v173
	v_mul_f32_e32 v173, 0xbf29c268, v173
	v_add_f32_e32 v142, v69, v142
	v_sub_f32_e32 v149, v156, v163
	v_mul_f32_e32 v231, 0x3f29c268, v181
	v_mul_f32_e32 v233, 0x3eedf032, v181
	v_mul_f32_e32 v235, 0xbf7e222b, v181
	v_mul_f32_e32 v237, 0x3e750f2a, v181
	v_mul_f32_e32 v181, 0x3f52af12, v181
	v_add_f32_e32 v142, v149, v142
	;; [unrolled: 7-line block ×3, first 2 shown]
	v_sub_f32_e32 v149, v183, v181
	v_mul_f32_e32 v200, 0x3f116cb1, v148
	v_mul_f32_e32 v202, 0x3df6dbef, v148
	;; [unrolled: 1-line block ×8, first 2 shown]
	v_mov_b32_e32 v129, v123
	v_mul_f32_e32 v123, 0xbf6f5d39, v195
	v_mul_f32_e32 v195, 0x3f7e222b, v195
	v_add_f32_e32 v142, v149, v142
	v_sub_f32_e32 v149, v191, v189
	v_mul_f32_e32 v210, 0xbeb58ec6, v160
	v_mul_f32_e32 v212, 0xbf788fa5, v160
	;; [unrolled: 1-line block ×5, first 2 shown]
	v_add_f32_e32 v142, v149, v142
	v_sub_f32_e32 v149, v197, v195
	v_add_f32_e32 v139, v148, v139
	v_mul_f32_e32 v218, 0x3df6dbef, v172
	v_mul_f32_e32 v220, 0xbf788fa5, v172
	;; [unrolled: 1-line block ×6, first 2 shown]
	v_add_f32_e32 v149, v149, v142
	v_add_f32_e32 v139, v68, v139
	;; [unrolled: 1-line block ×3, first 2 shown]
	v_mul_f32_e32 v228, 0xbeb58ec6, v180
	v_mul_f32_e32 v230, 0xbf3f9e67, v180
	;; [unrolled: 1-line block ×6, first 2 shown]
	v_add_f32_e32 v139, v142, v139
	v_add_f32_e32 v142, v172, v167
	v_mul_f32_e32 v239, 0xbf3f9e67, v188
	v_mul_f32_e32 v240, 0x3df6dbef, v188
	;; [unrolled: 1-line block ×6, first 2 shown]
	v_add_f32_e32 v139, v142, v139
	v_add_f32_e32 v142, v180, v179
	v_mul_f32_e32 v248, 0xbf788fa5, v194
	v_mul_f32_e32 v250, 0x3f62ad3f, v194
	v_mul_f32_e32 v252, 0xbf3f9e67, v194
	v_mul_f32_e32 v254, 0x3f116cb1, v194
	v_mov_b32_e32 v130, v128
	v_mul_f32_e32 v128, 0xbeb58ec6, v194
	v_mul_f32_e32 v194, 0x3df6dbef, v194
	v_add_f32_e32 v139, v142, v139
	v_add_f32_e32 v142, v188, v190
	;; [unrolled: 1-line block ×4, first 2 shown]
	v_sub_f32_e32 v134, v134, v207
	v_add_f32_e32 v148, v142, v139
	v_add_f32_e32 v134, v69, v134
	v_sub_f32_e32 v139, v146, v217
	s_waitcnt vmcnt(1)
	v_add_f32_e32 v15, v15, v199
	v_add_f32_e32 v134, v139, v134
	v_sub_f32_e32 v139, v161, v227
	v_add_f32_e32 v15, v68, v15
	s_waitcnt vmcnt(0)
	v_add_f32_e32 v23, v23, v85
	v_add_f32_e32 v134, v139, v134
	v_sub_f32_e32 v139, v175, v237
	v_add_f32_e32 v15, v23, v15
	v_add_f32_e32 v23, v218, v91
	v_add_f32_e32 v134, v139, v134
	v_sub_f32_e32 v139, v185, v247
	v_add_f32_e32 v15, v23, v15
	;; [unrolled: 4-line block ×3, first 2 shown]
	v_add_f32_e32 v23, v239, v145
	v_add_f32_e32 v161, v123, v134
	;; [unrolled: 1-line block ×20, first 2 shown]
	v_sub_f32_e32 v118, v118, v205
	v_add_f32_e32 v15, v77, v15
	v_add_f32_e32 v160, v127, v123
	;; [unrolled: 1-line block ×3, first 2 shown]
	v_sub_f32_e32 v123, v137, v215
	v_add_f32_e32 v15, v79, v15
	v_add_f32_e32 v118, v123, v118
	v_sub_f32_e32 v123, v151, v225
	v_add_f32_e32 v15, v80, v15
	v_add_f32_e32 v118, v123, v118
	;; [unrolled: 3-line block ×5, first 2 shown]
	v_add_f32_e32 v143, v123, v118
	v_add_f32_e32 v115, v68, v115
	;; [unrolled: 1-line block ×16, first 2 shown]
	v_sub_f32_e32 v88, v88, v203
	v_add_f32_e32 v14, v18, v14
	v_add_f32_e32 v142, v118, v115
	;; [unrolled: 1-line block ×3, first 2 shown]
	v_sub_f32_e32 v115, v125, v213
	v_add_f32_e32 v14, v19, v14
	v_add_f32_e32 v88, v115, v88
	v_sub_f32_e32 v115, v140, v223
	v_add_f32_e32 v14, v72, v14
	v_add_f32_e32 v88, v115, v88
	;; [unrolled: 3-line block ×4, first 2 shown]
	v_sub_f32_e32 v115, v182, v253
	v_add_f32_e32 v87, v202, v87
	v_sub_f32_e32 v84, v84, v201
	v_add_f32_e32 v83, v200, v83
	v_add_f32_e32 v14, v78, v14
	v_add_f32_e32 v88, v115, v88
	v_add_f32_e32 v87, v68, v87
	v_add_f32_e32 v115, v212, v124
	v_add_f32_e32 v84, v69, v84
	v_sub_f32_e32 v90, v90, v211
	v_add_f32_e32 v83, v68, v83
	v_add_f32_e32 v89, v210, v89
	v_add_f32_e32 v14, v20, v14
	v_add_f32_e32 v87, v115, v87
	v_add_f32_e32 v115, v222, v138
	;; [unrolled: 7-line block ×3, first 2 shown]
	v_add_f32_e32 v84, v90, v84
	v_sub_f32_e32 v90, v144, v231
	v_add_f32_e32 v83, v89, v83
	v_add_f32_e32 v89, v230, v141
	;; [unrolled: 1-line block ×3, first 2 shown]
	v_mul_u32_u24_e32 v14, 26, v130
	v_add_f32_e32 v87, v115, v87
	v_add_f32_e32 v115, v242, v166
	;; [unrolled: 1-line block ×3, first 2 shown]
	v_sub_f32_e32 v90, v158, v241
	v_add_f32_e32 v83, v89, v83
	v_add_f32_e32 v89, v240, v155
	v_or_b32_e32 v14, v14, v129
	v_add_f32_e32 v87, v115, v87
	v_add_f32_e32 v115, v252, v178
	v_add_f32_e32 v84, v90, v84
	v_sub_f32_e32 v90, v174, v251
	v_add_f32_e32 v83, v89, v83
	v_add_f32_e32 v89, v250, v169
	v_lshlrev_b32_e32 v14, 3, v14
	v_add_f32_e32 v87, v115, v87
	v_add_f32_e32 v84, v90, v84
	;; [unrolled: 1-line block ×3, first 2 shown]
	ds_write2_b64 v14, v[12:13], v[85:86] offset1:2
	ds_write2_b64 v14, v[83:84], v[87:88] offset0:4 offset1:6
	ds_write2_b64 v14, v[142:143], v[160:161] offset0:8 offset1:10
	;; [unrolled: 1-line block ×5, first 2 shown]
	ds_write_b64 v14, v[2:3] offset:192
.LBB0_25:
	s_or_b64 exec, exec, s[6:7]
	s_waitcnt lgkmcnt(0)
	s_barrier
	ds_read_b64 v[12:13], v119
	ds_read_b64 v[68:69], v119 offset:2288
	ds_read_b64 v[22:23], v119 offset:4576
	;; [unrolled: 1-line block ×6, first 2 shown]
	s_and_saveexec_b64 s[2:3], s[4:5]
	s_cbranch_execz .LBB0_27
; %bb.26:
	ds_read_b64 v[0:1], v119 offset:1456
	ds_read_b64 v[10:11], v119 offset:3744
	;; [unrolled: 1-line block ×7, first 2 shown]
.LBB0_27:
	s_or_b64 exec, exec, s[2:3]
	s_waitcnt lgkmcnt(5)
	v_mul_f32_e32 v70, v49, v69
	v_mul_f32_e32 v49, v49, v68
	v_fmac_f32_e32 v70, v48, v68
	v_fma_f32 v48, v48, v69, -v49
	s_waitcnt lgkmcnt(4)
	v_mul_f32_e32 v49, v51, v23
	v_fmac_f32_e32 v49, v50, v22
	v_mul_f32_e32 v22, v51, v22
	v_fma_f32 v22, v50, v23, -v22
	s_waitcnt lgkmcnt(3)
	v_mul_f32_e32 v23, v41, v21
	v_fmac_f32_e32 v23, v40, v20
	v_mul_f32_e32 v20, v41, v20
	;; [unrolled: 5-line block ×5, first 2 shown]
	v_fma_f32 v14, v38, v15, -v14
	v_add_f32_e32 v15, v70, v17
	v_add_f32_e32 v37, v49, v19
	;; [unrolled: 1-line block ×4, first 2 shown]
	v_sub_f32_e32 v16, v22, v16
	v_add_f32_e32 v22, v23, v21
	v_add_f32_e32 v39, v20, v18
	v_sub_f32_e32 v18, v18, v20
	v_add_f32_e32 v20, v37, v15
	v_sub_f32_e32 v21, v21, v23
	v_add_f32_e32 v23, v38, v36
	v_add_f32_e32 v20, v22, v20
	v_sub_f32_e32 v19, v49, v19
	v_sub_f32_e32 v40, v37, v15
	;; [unrolled: 1-line block ×4, first 2 shown]
	v_add_f32_e32 v22, v39, v23
	v_add_f32_e32 v12, v12, v20
	v_sub_f32_e32 v17, v70, v17
	v_sub_f32_e32 v14, v48, v14
	;; [unrolled: 1-line block ×5, first 2 shown]
	v_add_f32_e32 v42, v21, v19
	v_add_f32_e32 v43, v18, v16
	v_sub_f32_e32 v48, v21, v19
	v_sub_f32_e32 v49, v18, v16
	v_add_f32_e32 v13, v13, v22
	v_mov_b32_e32 v50, v12
	v_sub_f32_e32 v21, v17, v21
	v_sub_f32_e32 v18, v14, v18
	v_sub_f32_e32 v19, v19, v17
	v_sub_f32_e32 v16, v16, v14
	v_add_f32_e32 v17, v42, v17
	v_add_f32_e32 v14, v43, v14
	v_mul_f32_e32 v15, 0x3f4a47b2, v15
	v_mul_f32_e32 v23, 0x3f4a47b2, v36
	;; [unrolled: 1-line block ×6, first 2 shown]
	s_mov_b32 s6, 0xbf5ff5aa
	v_fmac_f32_e32 v50, 0xbf955555, v20
	v_mov_b32_e32 v20, v13
	s_mov_b32 s7, 0x3f3bfb3b
	s_mov_b32 s14, 0xbf3bfb3b
	v_mul_f32_e32 v48, 0xbf5ff5aa, v19
	v_mul_f32_e32 v49, 0xbf5ff5aa, v16
	v_fmac_f32_e32 v20, 0xbf955555, v22
	v_fma_f32 v22, v40, s7, -v36
	v_fma_f32 v36, v41, s7, -v39
	;; [unrolled: 1-line block ×3, first 2 shown]
	v_fmac_f32_e32 v15, 0x3d64c772, v37
	v_fma_f32 v37, v41, s14, -v23
	v_fmac_f32_e32 v23, 0x3d64c772, v38
	v_fma_f32 v38, v19, s6, -v42
	;; [unrolled: 2-line block ×3, first 2 shown]
	v_fmac_f32_e32 v43, 0xbeae86e6, v18
	s_mov_b32 s15, 0x3eae86e6
	v_fma_f32 v41, v21, s15, -v48
	v_fma_f32 v48, v18, s15, -v49
	v_add_f32_e32 v49, v15, v50
	v_add_f32_e32 v51, v23, v20
	v_fmac_f32_e32 v42, 0xbee1c552, v17
	v_fmac_f32_e32 v43, 0xbee1c552, v14
	v_add_f32_e32 v21, v22, v50
	v_add_f32_e32 v22, v36, v20
	;; [unrolled: 1-line block ×4, first 2 shown]
	v_fmac_f32_e32 v38, 0xbee1c552, v17
	v_fmac_f32_e32 v40, 0xbee1c552, v14
	;; [unrolled: 1-line block ×4, first 2 shown]
	v_add_f32_e32 v14, v43, v49
	v_sub_f32_e32 v15, v51, v42
	v_add_f32_e32 v16, v48, v23
	v_sub_f32_e32 v17, v36, v41
	v_sub_f32_e32 v18, v21, v40
	v_add_f32_e32 v19, v38, v22
	v_add_f32_e32 v20, v40, v21
	v_sub_f32_e32 v21, v22, v38
	v_sub_f32_e32 v22, v23, v48
	v_add_f32_e32 v23, v41, v36
	v_sub_f32_e32 v36, v49, v43
	v_add_f32_e32 v37, v42, v51
	s_barrier
	ds_write2_b64 v208, v[12:13], v[14:15] offset1:26
	ds_write2_b64 v208, v[16:17], v[18:19] offset0:52 offset1:78
	ds_write2_b64 v208, v[20:21], v[22:23] offset0:104 offset1:130
	ds_write_b64 v208, v[36:37] offset:1248
	s_and_saveexec_b64 s[2:3], s[4:5]
	s_cbranch_execz .LBB0_29
; %bb.28:
	v_mul_f32_e32 v12, v33, v11
	v_mul_f32_e32 v15, v31, v5
	;; [unrolled: 1-line block ×3, first 2 shown]
	v_fmac_f32_e32 v12, v32, v10
	v_mul_f32_e32 v13, v27, v114
	v_fmac_f32_e32 v15, v30, v4
	v_fmac_f32_e32 v16, v28, v8
	v_mul_f32_e32 v20, v25, v3
	v_mul_f32_e32 v27, v27, v113
	;; [unrolled: 1-line block ×5, first 2 shown]
	v_fmac_f32_e32 v13, v26, v113
	v_fmac_f32_e32 v20, v24, v2
	v_fma_f32 v26, v26, v114, -v27
	v_fma_f32 v10, v32, v11, -v10
	;; [unrolled: 1-line block ×4, first 2 shown]
	v_mul_f32_e32 v2, v25, v2
	v_mul_f32_e32 v19, v35, v7
	v_add_f32_e32 v11, v26, v10
	v_add_f32_e32 v5, v4, v8
	v_fma_f32 v2, v24, v3, -v2
	v_mul_f32_e32 v3, v35, v6
	v_fmac_f32_e32 v19, v34, v6
	v_sub_f32_e32 v9, v11, v5
	v_fma_f32 v6, v34, v7, -v3
	v_mul_f32_e32 v9, 0x3f4a47b2, v9
	v_add_f32_e32 v7, v2, v6
	v_sub_f32_e32 v3, v5, v7
	v_mov_b32_e32 v25, v9
	v_mul_f32_e32 v24, 0x3d64c772, v3
	v_fmac_f32_e32 v25, 0x3d64c772, v3
	v_add_f32_e32 v3, v7, v11
	v_sub_f32_e32 v14, v12, v13
	v_add_f32_e32 v3, v5, v3
	v_add_f32_e32 v12, v13, v12
	;; [unrolled: 1-line block ×3, first 2 shown]
	v_sub_f32_e32 v13, v12, v5
	v_sub_f32_e32 v17, v15, v16
	v_mul_f32_e32 v13, 0x3f4a47b2, v13
	v_add_f32_e32 v15, v20, v19
	v_sub_f32_e32 v21, v19, v20
	v_sub_f32_e32 v16, v5, v15
	v_mov_b32_e32 v20, v13
	v_sub_f32_e32 v18, v14, v17
	v_sub_f32_e32 v22, v17, v21
	v_add_f32_e32 v17, v17, v21
	v_mul_f32_e32 v19, 0x3d64c772, v16
	v_fmac_f32_e32 v20, 0x3d64c772, v16
	v_add_f32_e32 v16, v15, v12
	v_sub_f32_e32 v4, v4, v8
	v_sub_f32_e32 v6, v6, v2
	v_mul_f32_e32 v22, 0x3f08b237, v22
	v_add_f32_e32 v17, v17, v14
	v_add_f32_e32 v1, v1, v3
	v_add_f32_e32 v5, v5, v16
	v_sub_f32_e32 v10, v10, v26
	v_sub_f32_e32 v2, v4, v6
	;; [unrolled: 1-line block ×3, first 2 shown]
	v_mov_b32_e32 v23, v22
	v_mov_b32_e32 v27, v1
	v_add_f32_e32 v0, v0, v5
	v_sub_f32_e32 v8, v10, v4
	v_mul_f32_e32 v26, 0x3f08b237, v2
	v_add_f32_e32 v2, v4, v6
	v_mul_f32_e32 v4, 0xbf5ff5aa, v14
	v_sub_f32_e32 v7, v7, v11
	v_fmac_f32_e32 v23, 0xbeae86e6, v18
	v_fmac_f32_e32 v27, 0xbf955555, v3
	v_mov_b32_e32 v16, v0
	v_fma_f32 v18, v18, s15, -v4
	v_fma_f32 v4, v7, s14, -v9
	v_sub_f32_e32 v9, v15, v12
	v_fmac_f32_e32 v16, 0xbf955555, v5
	v_add_f32_e32 v11, v4, v27
	v_fma_f32 v4, v9, s14, -v13
	v_sub_f32_e32 v6, v6, v10
	v_mov_b32_e32 v28, v26
	v_add_f32_e32 v29, v2, v10
	v_add_f32_e32 v12, v4, v16
	v_mul_f32_e32 v4, 0xbf5ff5aa, v6
	v_fma_f32 v7, v7, s7, -v24
	v_fma_f32 v13, v14, s6, -v22
	;; [unrolled: 1-line block ×4, first 2 shown]
	v_fmac_f32_e32 v28, 0xbeae86e6, v8
	v_fma_f32 v10, v8, s15, -v4
	v_add_f32_e32 v8, v7, v27
	v_fmac_f32_e32 v13, 0xbee1c552, v17
	v_fmac_f32_e32 v14, 0xbee1c552, v29
	v_add_f32_e32 v15, v6, v16
	s_movk_i32 s4, 0xb6
	v_fmac_f32_e32 v23, 0xbee1c552, v17
	v_add_f32_e32 v25, v25, v27
	v_add_f32_e32 v20, v20, v16
	v_fmac_f32_e32 v28, 0xbee1c552, v29
	v_fmac_f32_e32 v10, 0xbee1c552, v29
	v_sub_f32_e32 v7, v8, v13
	v_add_f32_e32 v6, v14, v15
	v_add_f32_e32 v9, v13, v8
	v_sub_f32_e32 v8, v15, v14
	v_mad_legacy_u16 v14, v131, s4, v122
	v_fmac_f32_e32 v18, 0xbee1c552, v17
	v_sub_f32_e32 v4, v12, v10
	v_add_f32_e32 v10, v10, v12
	v_sub_f32_e32 v13, v25, v23
	v_add_f32_e32 v12, v28, v20
	v_lshlrev_b32_e32 v14, 3, v14
	v_add_f32_e32 v3, v23, v25
	v_sub_f32_e32 v2, v20, v28
	v_add_f32_e32 v5, v18, v11
	v_sub_f32_e32 v11, v11, v18
	ds_write2_b64 v14, v[0:1], v[12:13] offset1:26
	ds_write2_b64 v14, v[10:11], v[8:9] offset0:52 offset1:78
	ds_write2_b64 v14, v[6:7], v[4:5] offset0:104 offset1:130
	ds_write_b64 v14, v[2:3] offset:1248
.LBB0_29:
	s_or_b64 exec, exec, s[2:3]
	s_waitcnt lgkmcnt(0)
	s_barrier
	ds_read2_b64 v[1:4], v119 offset1:182
	v_add_u32_e32 v0, 0xa00, v119
	ds_read2_b64 v[5:8], v0 offset0:44 offset1:226
	v_add_u32_e32 v23, 0x1600, v119
	ds_read2_b64 v[9:12], v23 offset0:24 offset1:206
	v_add_u32_e32 v24, 0x2000, v119
	s_waitcnt lgkmcnt(2)
	v_mul_f32_e32 v26, v61, v4
	ds_read2_b64 v[13:16], v24 offset0:68 offset1:250
	v_fmac_f32_e32 v26, v60, v3
	v_mul_f32_e32 v3, v61, v3
	v_fma_f32 v27, v60, v4, -v3
	s_waitcnt lgkmcnt(2)
	v_mul_f32_e32 v28, v63, v6
	v_mul_f32_e32 v3, v63, v5
	v_add_u32_e32 v25, 0x2c00, v119
	v_fmac_f32_e32 v28, v62, v5
	v_fma_f32 v5, v62, v6, -v3
	v_mul_f32_e32 v6, v57, v8
	v_mul_f32_e32 v3, v57, v7
	ds_read2_b64 v[17:20], v25 offset0:48 offset1:230
	ds_read_b64 v[21:22], v119 offset:14560
	v_fmac_f32_e32 v6, v56, v7
	v_fma_f32 v7, v56, v8, -v3
	s_waitcnt lgkmcnt(3)
	v_mul_f32_e32 v8, v59, v10
	v_mul_f32_e32 v3, v59, v9
	v_fmac_f32_e32 v8, v58, v9
	v_fma_f32 v9, v58, v10, -v3
	v_mul_f32_e32 v10, v53, v12
	v_mul_f32_e32 v3, v53, v11
	v_fmac_f32_e32 v10, v52, v11
	v_fma_f32 v11, v52, v12, -v3
	s_waitcnt lgkmcnt(2)
	v_mul_f32_e32 v12, v55, v14
	v_mul_f32_e32 v3, v55, v13
	v_fmac_f32_e32 v12, v54, v13
	v_fma_f32 v13, v54, v14, -v3
	v_mul_f32_e32 v14, v45, v16
	v_mul_f32_e32 v3, v45, v15
	;; [unrolled: 9-line block ×3, first 2 shown]
	v_fmac_f32_e32 v18, v64, v19
	v_fma_f32 v19, v64, v20, -v3
	s_waitcnt lgkmcnt(0)
	v_mul_f32_e32 v20, v67, v22
	v_mul_f32_e32 v3, v67, v21
	v_add_f32_e32 v4, v2, v27
	v_fmac_f32_e32 v20, v66, v21
	v_fma_f32 v21, v66, v22, -v3
	v_add_f32_e32 v3, v1, v26
	v_add_f32_e32 v4, v4, v5
	;; [unrolled: 1-line block ×19, first 2 shown]
	v_sub_f32_e32 v21, v27, v21
	v_add_f32_e32 v3, v3, v20
	v_add_f32_e32 v22, v26, v20
	v_sub_f32_e32 v20, v26, v20
	v_mul_f32_e32 v26, 0xbf0a6770, v21
	v_mul_f32_e32 v32, 0xbf68dda4, v21
	;; [unrolled: 1-line block ×5, first 2 shown]
	s_mov_b32 s4, 0x3f575c64
	v_mov_b32_e32 v27, v26
	s_mov_b32 s2, 0x3ed4b147
	v_mov_b32_e32 v33, v32
	;; [unrolled: 2-line block ×5, first 2 shown]
	v_fmac_f32_e32 v27, 0x3f575c64, v22
	v_fma_f32 v26, v22, s4, -v26
	v_fmac_f32_e32 v33, 0x3ed4b147, v22
	v_fma_f32 v32, v22, s2, -v32
	;; [unrolled: 2-line block ×5, first 2 shown]
	v_add_f32_e32 v27, v1, v27
	v_mul_f32_e32 v30, 0x3f575c64, v29
	v_add_f32_e32 v26, v1, v26
	v_add_f32_e32 v33, v1, v33
	v_mul_f32_e32 v34, 0x3ed4b147, v29
	v_add_f32_e32 v32, v1, v32
	;; [unrolled: 3-line block ×5, first 2 shown]
	v_add_f32_e32 v21, v5, v19
	v_sub_f32_e32 v5, v5, v19
	v_mov_b32_e32 v31, v30
	v_mov_b32_e32 v35, v34
	;; [unrolled: 1-line block ×5, first 2 shown]
	v_mul_f32_e32 v19, 0xbf68dda4, v5
	v_fmac_f32_e32 v31, 0x3f0a6770, v20
	v_fmac_f32_e32 v30, 0xbf0a6770, v20
	;; [unrolled: 1-line block ×10, first 2 shown]
	v_add_f32_e32 v20, v28, v18
	v_mov_b32_e32 v22, v19
	v_fmac_f32_e32 v22, 0x3ed4b147, v20
	v_sub_f32_e32 v18, v28, v18
	v_add_f32_e32 v22, v22, v27
	v_mul_f32_e32 v27, 0x3ed4b147, v21
	v_add_f32_e32 v30, v2, v30
	v_mov_b32_e32 v28, v27
	v_fma_f32 v19, v20, s2, -v19
	v_fmac_f32_e32 v27, 0xbf68dda4, v18
	v_add_f32_e32 v19, v19, v26
	v_add_f32_e32 v26, v27, v30
	v_mul_f32_e32 v27, 0xbf4178ce, v5
	v_add_f32_e32 v31, v2, v31
	v_add_f32_e32 v35, v2, v35
	;; [unrolled: 1-line block ×9, first 2 shown]
	v_mov_b32_e32 v29, v27
	v_fma_f32 v27, v20, s5, -v27
	v_fmac_f32_e32 v28, 0x3f68dda4, v18
	v_fmac_f32_e32 v29, 0xbf27a4f4, v20
	v_mul_f32_e32 v30, 0xbf27a4f4, v21
	v_add_f32_e32 v27, v27, v32
	v_mul_f32_e32 v32, 0x3e903f40, v5
	v_add_f32_e32 v28, v28, v31
	v_add_f32_e32 v29, v29, v33
	v_mov_b32_e32 v31, v30
	v_fmac_f32_e32 v30, 0xbf4178ce, v18
	v_mov_b32_e32 v33, v32
	v_fma_f32 v32, v20, s6, -v32
	v_fmac_f32_e32 v31, 0x3f4178ce, v18
	v_add_f32_e32 v30, v30, v34
	v_fmac_f32_e32 v33, 0xbf75a155, v20
	v_mul_f32_e32 v34, 0xbf75a155, v21
	v_add_f32_e32 v32, v32, v36
	v_mul_f32_e32 v36, 0x3f7d64f0, v5
	v_add_f32_e32 v31, v31, v35
	v_add_f32_e32 v33, v33, v37
	v_mov_b32_e32 v35, v34
	v_fmac_f32_e32 v34, 0x3e903f40, v18
	v_mov_b32_e32 v37, v36
	v_fmac_f32_e32 v35, 0xbe903f40, v18
	v_add_f32_e32 v34, v34, v38
	v_fmac_f32_e32 v37, 0xbe11bafb, v20
	v_mul_f32_e32 v38, 0xbe11bafb, v21
	v_mul_f32_e32 v21, 0x3f575c64, v21
	v_add_f32_e32 v35, v35, v39
	v_add_f32_e32 v37, v37, v41
	v_mov_b32_e32 v39, v38
	v_fma_f32 v36, v20, s3, -v36
	v_mul_f32_e32 v5, 0x3f0a6770, v5
	v_mov_b32_e32 v41, v21
	v_fmac_f32_e32 v39, 0xbf7d64f0, v18
	v_add_f32_e32 v36, v36, v40
	v_fmac_f32_e32 v38, 0x3f7d64f0, v18
	v_mov_b32_e32 v40, v5
	v_fmac_f32_e32 v41, 0xbf0a6770, v18
	v_fma_f32 v5, v20, s4, -v5
	v_fmac_f32_e32 v21, 0x3f0a6770, v18
	v_add_f32_e32 v18, v7, v17
	v_sub_f32_e32 v7, v7, v17
	v_fmac_f32_e32 v40, 0x3f575c64, v20
	v_add_f32_e32 v1, v5, v1
	v_add_f32_e32 v5, v6, v16
	v_sub_f32_e32 v6, v6, v16
	v_mul_f32_e32 v16, 0xbf7d64f0, v7
	v_mul_f32_e32 v20, 0xbe11bafb, v18
	v_add_f32_e32 v2, v21, v2
	v_mov_b32_e32 v17, v16
	v_mov_b32_e32 v21, v20
	v_fma_f32 v16, v5, s3, -v16
	v_fmac_f32_e32 v20, 0xbf7d64f0, v6
	v_fmac_f32_e32 v17, 0xbe11bafb, v5
	v_add_f32_e32 v16, v16, v19
	v_add_f32_e32 v19, v20, v26
	v_mul_f32_e32 v20, 0x3e903f40, v7
	v_add_f32_e32 v17, v17, v22
	v_mov_b32_e32 v22, v20
	v_fma_f32 v20, v5, s6, -v20
	v_fmac_f32_e32 v22, 0xbf75a155, v5
	v_add_f32_e32 v20, v20, v27
	v_mul_f32_e32 v27, 0x3f68dda4, v7
	v_fmac_f32_e32 v21, 0x3f7d64f0, v6
	v_add_f32_e32 v22, v22, v29
	v_mul_f32_e32 v26, 0xbf75a155, v18
	v_mov_b32_e32 v29, v27
	v_fma_f32 v27, v5, s2, -v27
	v_add_f32_e32 v21, v21, v28
	v_mov_b32_e32 v28, v26
	v_fmac_f32_e32 v26, 0x3e903f40, v6
	v_fmac_f32_e32 v29, 0x3ed4b147, v5
	v_add_f32_e32 v27, v27, v32
	v_mul_f32_e32 v32, 0xbf0a6770, v7
	v_fmac_f32_e32 v28, 0xbe903f40, v6
	v_add_f32_e32 v26, v26, v30
	v_add_f32_e32 v29, v29, v33
	v_mul_f32_e32 v30, 0x3ed4b147, v18
	v_mov_b32_e32 v33, v32
	v_fma_f32 v32, v5, s4, -v32
	v_mul_f32_e32 v7, 0xbf4178ce, v7
	v_add_f32_e32 v28, v28, v31
	v_mov_b32_e32 v31, v30
	v_fmac_f32_e32 v30, 0x3f68dda4, v6
	v_add_f32_e32 v32, v32, v36
	v_mov_b32_e32 v36, v7
	v_fmac_f32_e32 v31, 0xbf68dda4, v6
	v_add_f32_e32 v30, v30, v34
	v_fmac_f32_e32 v33, 0x3f575c64, v5
	v_mul_f32_e32 v34, 0x3f575c64, v18
	v_fmac_f32_e32 v36, 0xbf27a4f4, v5
	v_mul_f32_e32 v18, 0xbf27a4f4, v18
	v_fma_f32 v5, v5, s5, -v7
	v_add_f32_e32 v31, v31, v35
	v_add_f32_e32 v33, v33, v37
	v_mov_b32_e32 v35, v34
	v_mov_b32_e32 v37, v18
	v_add_f32_e32 v1, v5, v1
	v_add_f32_e32 v5, v8, v14
	v_sub_f32_e32 v7, v8, v14
	v_sub_f32_e32 v8, v9, v15
	v_fmac_f32_e32 v35, 0x3f0a6770, v6
	v_fmac_f32_e32 v34, 0xbf0a6770, v6
	;; [unrolled: 1-line block ×4, first 2 shown]
	v_add_f32_e32 v6, v9, v15
	v_mul_f32_e32 v9, 0xbf4178ce, v8
	v_mov_b32_e32 v14, v9
	v_fma_f32 v9, v5, s5, -v9
	v_fmac_f32_e32 v14, 0xbf27a4f4, v5
	v_mul_f32_e32 v15, 0xbf27a4f4, v6
	v_add_f32_e32 v9, v9, v16
	v_mul_f32_e32 v16, 0x3f7d64f0, v8
	v_add_f32_e32 v2, v18, v2
	v_add_f32_e32 v14, v14, v17
	v_mov_b32_e32 v17, v15
	v_fmac_f32_e32 v15, 0xbf4178ce, v7
	v_mov_b32_e32 v18, v16
	v_fma_f32 v16, v5, s3, -v16
	v_fmac_f32_e32 v17, 0x3f4178ce, v7
	v_add_f32_e32 v15, v15, v19
	v_fmac_f32_e32 v18, 0xbe11bafb, v5
	v_mul_f32_e32 v19, 0xbe11bafb, v6
	v_add_f32_e32 v16, v16, v20
	v_mul_f32_e32 v20, 0xbf0a6770, v8
	v_add_f32_e32 v17, v17, v21
	v_add_f32_e32 v18, v18, v22
	v_mov_b32_e32 v21, v19
	v_fmac_f32_e32 v19, 0x3f7d64f0, v7
	v_mov_b32_e32 v22, v20
	v_fma_f32 v20, v5, s4, -v20
	v_fmac_f32_e32 v21, 0xbf7d64f0, v7
	v_add_f32_e32 v19, v19, v26
	v_fmac_f32_e32 v22, 0x3f575c64, v5
	v_mul_f32_e32 v26, 0x3f575c64, v6
	v_add_f32_e32 v20, v20, v27
	v_mul_f32_e32 v27, 0xbe903f40, v8
	v_add_f32_e32 v21, v21, v28
	v_add_f32_e32 v22, v22, v29
	v_mov_b32_e32 v28, v26
	v_fmac_f32_e32 v26, 0xbf0a6770, v7
	v_mov_b32_e32 v29, v27
	v_fma_f32 v27, v5, s6, -v27
	v_mul_f32_e32 v8, 0x3f68dda4, v8
	v_add_f32_e32 v39, v39, v43
	v_add_f32_e32 v38, v38, v42
	;; [unrolled: 1-line block ×3, first 2 shown]
	v_fmac_f32_e32 v28, 0x3f0a6770, v7
	v_add_f32_e32 v26, v26, v30
	v_fmac_f32_e32 v29, 0xbf75a155, v5
	v_mul_f32_e32 v30, 0xbf75a155, v6
	v_add_f32_e32 v27, v27, v32
	v_mov_b32_e32 v32, v8
	v_mul_f32_e32 v6, 0x3ed4b147, v6
	v_add_f32_e32 v41, v41, v45
	v_add_f32_e32 v35, v35, v39
	;; [unrolled: 1-line block ×6, first 2 shown]
	v_mov_b32_e32 v31, v30
	v_fmac_f32_e32 v30, 0xbe903f40, v7
	v_fmac_f32_e32 v32, 0x3ed4b147, v5
	v_mov_b32_e32 v33, v6
	v_fma_f32 v5, v5, s2, -v8
	v_sub_f32_e32 v39, v11, v13
	v_add_f32_e32 v37, v37, v41
	v_add_f32_e32 v30, v30, v34
	;; [unrolled: 1-line block ×3, first 2 shown]
	v_fmac_f32_e32 v33, 0xbf68dda4, v7
	v_add_f32_e32 v34, v5, v1
	v_add_f32_e32 v36, v10, v12
	v_mul_f32_e32 v5, 0xbe903f40, v39
	v_fmac_f32_e32 v31, 0x3e903f40, v7
	v_add_f32_e32 v33, v33, v37
	v_fmac_f32_e32 v6, 0x3f68dda4, v7
	v_add_f32_e32 v37, v11, v13
	v_mov_b32_e32 v1, v5
	v_fma_f32 v5, v36, s6, -v5
	v_add_f32_e32 v31, v31, v35
	v_add_f32_e32 v35, v6, v2
	v_sub_f32_e32 v38, v10, v12
	v_mul_f32_e32 v6, 0xbf75a155, v37
	v_add_f32_e32 v5, v5, v9
	v_mul_f32_e32 v9, 0x3f0a6770, v39
	v_mul_f32_e32 v10, 0x3f575c64, v37
	v_mul_f32_e32 v13, 0xbf4178ce, v39
	v_mov_b32_e32 v2, v6
	v_mov_b32_e32 v7, v9
	;; [unrolled: 1-line block ×4, first 2 shown]
	v_fmac_f32_e32 v1, 0xbf75a155, v36
	v_fmac_f32_e32 v2, 0x3e903f40, v38
	;; [unrolled: 1-line block ×5, first 2 shown]
	v_add_f32_e32 v1, v1, v14
	v_add_f32_e32 v2, v2, v17
	v_fmac_f32_e32 v6, 0xbe903f40, v38
	v_add_f32_e32 v7, v7, v18
	v_add_f32_e32 v8, v8, v21
	v_fma_f32 v9, v36, s4, -v9
	v_fmac_f32_e32 v10, 0x3f0a6770, v38
	v_add_f32_e32 v11, v11, v22
	v_mul_f32_e32 v14, 0xbf27a4f4, v37
	v_fma_f32 v13, v36, s5, -v13
	v_mul_f32_e32 v17, 0x3f68dda4, v39
	v_mul_f32_e32 v18, 0x3ed4b147, v37
	;; [unrolled: 1-line block ×4, first 2 shown]
	v_add_f32_e32 v6, v6, v15
	v_add_f32_e32 v9, v9, v16
	;; [unrolled: 1-line block ×3, first 2 shown]
	v_mov_b32_e32 v12, v14
	v_add_f32_e32 v13, v13, v20
	v_mov_b32_e32 v15, v17
	v_mov_b32_e32 v16, v18
	v_mov_b32_e32 v19, v21
	v_mov_b32_e32 v20, v22
	v_fmac_f32_e32 v12, 0x3f4178ce, v38
	v_fmac_f32_e32 v14, 0xbf4178ce, v38
	;; [unrolled: 1-line block ×4, first 2 shown]
	v_fma_f32 v17, v36, s2, -v17
	v_fmac_f32_e32 v18, 0x3f68dda4, v38
	v_fmac_f32_e32 v19, 0xbe11bafb, v36
	v_fmac_f32_e32 v20, 0x3f7d64f0, v38
	v_fma_f32 v21, v36, s3, -v21
	v_fmac_f32_e32 v22, 0xbf7d64f0, v38
	v_add_f32_e32 v12, v12, v28
	v_add_f32_e32 v14, v14, v26
	;; [unrolled: 1-line block ×10, first 2 shown]
	ds_write2_b64 v119, v[3:4], v[1:2] offset1:182
	ds_write2_b64 v0, v[7:8], v[11:12] offset0:44 offset1:226
	ds_write2_b64 v23, v[15:16], v[19:20] offset0:24 offset1:206
	;; [unrolled: 1-line block ×4, first 2 shown]
	ds_write_b64 v119, v[5:6] offset:14560
	s_waitcnt lgkmcnt(0)
	s_barrier
	ds_read2_b64 v[1:4], v119 offset1:182
	v_mad_u64_u32 v[9:10], s[2:3], s10, v238, 0
	s_mov_b32 s2, 0x27a3ee9c
	s_mov_b32 s3, 0x3f405e1d
	s_waitcnt lgkmcnt(0)
	v_mul_f32_e32 v5, v110, v2
	v_fmac_f32_e32 v5, v109, v1
	v_cvt_f64_f32_e32 v[5:6], v5
	v_mul_f32_e32 v1, v110, v1
	v_fma_f32 v1, v109, v2, -v1
	v_cvt_f64_f32_e32 v[1:2], v1
	v_mul_f64 v[5:6], v[5:6], s[2:3]
	v_mad_u64_u32 v[11:12], s[4:5], s8, v104, 0
	v_mov_b32_e32 v7, v10
	v_mad_u64_u32 v[7:8], s[4:5], s11, v238, v[7:8]
	v_mul_f64 v[1:2], v[1:2], s[2:3]
	s_mul_hi_u32 s7, s8, 0xfffffccd
	v_cvt_f32_f64_e32 v13, v[5:6]
	v_mov_b32_e32 v5, v12
	v_mad_u64_u32 v[15:16], s[4:5], s9, v104, v[5:6]
	v_add_u32_e32 v5, 0x1e00, v119
	v_mov_b32_e32 v10, v7
	ds_read2_b64 v[5:8], v5 offset0:41 offset1:223
	v_cvt_f32_f64_e32 v14, v[1:2]
	v_lshlrev_b64 v[1:2], 3, v[9:10]
	v_mov_b32_e32 v12, v15
	v_mov_b32_e32 v15, s13
	s_waitcnt lgkmcnt(0)
	v_mul_f32_e32 v9, v106, v6
	v_fmac_f32_e32 v9, v105, v5
	v_mul_f32_e32 v5, v106, v5
	v_fma_f32 v5, v105, v6, -v5
	v_cvt_f64_f32_e32 v[9:10], v9
	v_cvt_f64_f32_e32 v[5:6], v5
	v_add_co_u32_e32 v16, vcc, s12, v1
	v_addc_co_u32_e32 v15, vcc, v15, v2, vcc
	v_mul_f64 v[1:2], v[9:10], s[2:3]
	v_mul_f64 v[5:6], v[5:6], s[2:3]
	v_lshlrev_b64 v[9:10], 3, v[11:12]
	s_mul_i32 s4, s9, 0x3e9
	s_mul_hi_u32 s5, s8, 0x3e9
	v_add_co_u32_e32 v9, vcc, v16, v9
	s_add_i32 s5, s5, s4
	v_cvt_f32_f64_e32 v1, v[1:2]
	v_cvt_f32_f64_e32 v2, v[5:6]
	v_mul_f32_e32 v5, v112, v4
	v_fmac_f32_e32 v5, v111, v3
	v_mul_f32_e32 v3, v112, v3
	v_fma_f32 v3, v111, v4, -v3
	v_cvt_f64_f32_e32 v[5:6], v5
	v_cvt_f64_f32_e32 v[3:4], v3
	s_mul_i32 s4, s8, 0x3e9
	v_addc_co_u32_e32 v10, vcc, v15, v10, vcc
	v_mul_f64 v[5:6], v[5:6], s[2:3]
	v_mul_f64 v[3:4], v[3:4], s[2:3]
	s_lshl_b64 s[4:5], s[4:5], 3
	global_store_dwordx2 v[9:10], v[13:14], off
	v_mov_b32_e32 v17, s5
	v_add_co_u32_e32 v9, vcc, s4, v9
	v_addc_co_u32_e32 v10, vcc, v10, v17, vcc
	v_cvt_f32_f64_e32 v5, v[5:6]
	v_cvt_f32_f64_e32 v6, v[3:4]
	v_mul_f32_e32 v3, v108, v7
	global_store_dwordx2 v[9:10], v[1:2], off
	v_mul_f32_e32 v1, v108, v8
	v_fma_f32 v3, v107, v8, -v3
	v_fmac_f32_e32 v1, v107, v7
	v_cvt_f64_f32_e32 v[3:4], v3
	v_cvt_f64_f32_e32 v[1:2], v1
	s_mul_i32 s6, s9, 0xfffffccd
	s_sub_i32 s7, s7, s8
	v_mul_f64 v[11:12], v[3:4], s[2:3]
	v_mul_f64 v[7:8], v[1:2], s[2:3]
	ds_read2_b64 v[0:3], v0 offset0:44 offset1:226
	s_add_i32 s7, s7, s6
	s_mul_i32 s6, s8, 0xfffffccd
	s_lshl_b64 s[6:7], s[6:7], 3
	v_mov_b32_e32 v18, s7
	s_waitcnt lgkmcnt(0)
	v_mul_f32_e32 v4, v103, v1
	v_add_co_u32_e32 v9, vcc, s6, v9
	v_fmac_f32_e32 v4, v102, v0
	v_addc_co_u32_e32 v10, vcc, v10, v18, vcc
	v_cvt_f32_f64_e32 v14, v[11:12]
	v_cvt_f64_f32_e32 v[11:12], v4
	v_add_u32_e32 v4, 0x2a00, v119
	global_store_dwordx2 v[9:10], v[5:6], off
	v_cvt_f32_f64_e32 v13, v[7:8]
	ds_read2_b64 v[4:7], v4 offset0:21 offset1:203
	v_add_co_u32_e32 v8, vcc, s4, v9
	v_mul_f32_e32 v0, v103, v0
	v_addc_co_u32_e32 v9, vcc, v10, v17, vcc
	v_mul_f64 v[10:11], v[11:12], s[2:3]
	s_waitcnt lgkmcnt(0)
	v_mul_f32_e32 v12, v101, v5
	v_fma_f32 v0, v102, v1, -v0
	v_fmac_f32_e32 v12, v100, v4
	v_mul_f32_e32 v4, v101, v4
	v_cvt_f64_f32_e32 v[0:1], v0
	v_fma_f32 v4, v100, v5, -v4
	v_cvt_f64_f32_e32 v[4:5], v4
	v_cvt_f64_f32_e32 v[15:16], v12
	v_mul_f64 v[0:1], v[0:1], s[2:3]
	global_store_dwordx2 v[8:9], v[13:14], off
	v_mul_f64 v[4:5], v[4:5], s[2:3]
	v_mul_f64 v[12:13], v[15:16], s[2:3]
	v_cvt_f32_f64_e32 v10, v[10:11]
	v_cvt_f32_f64_e32 v11, v[0:1]
	v_add_co_u32_e32 v0, vcc, s6, v8
	v_addc_co_u32_e32 v1, vcc, v9, v18, vcc
	v_cvt_f32_f64_e32 v9, v[4:5]
	v_mul_f32_e32 v4, v99, v3
	v_fmac_f32_e32 v4, v98, v2
	v_mul_f32_e32 v2, v99, v2
	v_fma_f32 v2, v98, v3, -v2
	v_cvt_f64_f32_e32 v[4:5], v4
	v_cvt_f64_f32_e32 v[2:3], v2
	v_cvt_f32_f64_e32 v8, v[12:13]
	global_store_dwordx2 v[0:1], v[10:11], off
	v_add_co_u32_e32 v0, vcc, s4, v0
	v_addc_co_u32_e32 v1, vcc, v1, v17, vcc
	v_mul_f64 v[4:5], v[4:5], s[2:3]
	v_mul_f64 v[2:3], v[2:3], s[2:3]
	global_store_dwordx2 v[0:1], v[8:9], off
	v_mul_f32_e32 v8, v97, v7
	v_fmac_f32_e32 v8, v96, v6
	v_mul_f32_e32 v6, v97, v6
	v_fma_f32 v6, v96, v7, -v6
	v_cvt_f64_f32_e32 v[8:9], v8
	v_cvt_f64_f32_e32 v[6:7], v6
	v_cvt_f32_f64_e32 v4, v[4:5]
	v_cvt_f32_f64_e32 v5, v[2:3]
	v_mul_f64 v[2:3], v[8:9], s[2:3]
	v_mul_f64 v[6:7], v[6:7], s[2:3]
	ds_read_b64 v[8:9], v119 offset:5824
	v_add_co_u32_e32 v0, vcc, s6, v0
	v_addc_co_u32_e32 v1, vcc, v1, v18, vcc
	global_store_dwordx2 v[0:1], v[4:5], off
	ds_read_b64 v[4:5], v119 offset:13832
	v_cvt_f32_f64_e32 v2, v[2:3]
	v_cvt_f32_f64_e32 v3, v[6:7]
	s_waitcnt lgkmcnt(1)
	v_mul_f32_e32 v6, v93, v9
	v_fmac_f32_e32 v6, v92, v8
	v_cvt_f64_f32_e32 v[6:7], v6
	v_mul_f32_e32 v8, v93, v8
	v_fma_f32 v8, v92, v9, -v8
	v_cvt_f64_f32_e32 v[8:9], v8
	v_mul_f64 v[6:7], v[6:7], s[2:3]
	s_waitcnt lgkmcnt(0)
	v_mul_f32_e32 v10, v95, v5
	v_fmac_f32_e32 v10, v94, v4
	v_mul_f32_e32 v4, v95, v4
	v_fma_f32 v4, v94, v5, -v4
	v_mul_f64 v[8:9], v[8:9], s[2:3]
	v_cvt_f64_f32_e32 v[10:11], v10
	v_cvt_f64_f32_e32 v[4:5], v4
	v_add_co_u32_e32 v0, vcc, s4, v0
	v_addc_co_u32_e32 v1, vcc, v1, v17, vcc
	global_store_dwordx2 v[0:1], v[2:3], off
	v_cvt_f32_f64_e32 v2, v[6:7]
	v_mul_f64 v[6:7], v[10:11], s[2:3]
	v_mul_f64 v[4:5], v[4:5], s[2:3]
	v_cvt_f32_f64_e32 v3, v[8:9]
	v_add_co_u32_e32 v0, vcc, s6, v0
	v_addc_co_u32_e32 v1, vcc, v1, v18, vcc
	global_store_dwordx2 v[0:1], v[2:3], off
	v_cvt_f32_f64_e32 v2, v[6:7]
	v_cvt_f32_f64_e32 v3, v[4:5]
	v_add_co_u32_e32 v0, vcc, s4, v0
	v_addc_co_u32_e32 v1, vcc, v1, v17, vcc
	global_store_dwordx2 v[0:1], v[2:3], off
	s_and_b64 exec, exec, s[0:1]
	s_cbranch_execz .LBB0_31
; %bb.30:
	v_add_co_u32_e32 v2, vcc, 0x1000, v120
	v_addc_co_u32_e32 v3, vcc, 0, v121, vcc
	s_movk_i32 s0, 0x3000
	v_add_co_u32_e32 v4, vcc, s0, v120
	global_load_dwordx2 v[2:3], v[2:3], off offset:3184
	v_addc_co_u32_e32 v5, vcc, 0, v121, vcc
	global_load_dwordx2 v[4:5], v[4:5], off offset:3000
	ds_read_b64 v[6:7], v119 offset:7280
	ds_read_b64 v[8:9], v119 offset:15288
	v_mov_b32_e32 v10, s7
	v_add_co_u32_e32 v0, vcc, s6, v0
	v_addc_co_u32_e32 v1, vcc, v1, v10, vcc
	v_mov_b32_e32 v11, s5
	s_waitcnt vmcnt(1) lgkmcnt(1)
	v_mul_f32_e32 v12, v7, v3
	v_mul_f32_e32 v3, v6, v3
	v_fmac_f32_e32 v12, v6, v2
	s_waitcnt vmcnt(0) lgkmcnt(0)
	v_mul_f32_e32 v13, v9, v5
	v_mul_f32_e32 v5, v8, v5
	v_fma_f32 v6, v2, v7, -v3
	v_fmac_f32_e32 v13, v8, v4
	v_fma_f32 v8, v4, v9, -v5
	v_cvt_f64_f32_e32 v[2:3], v12
	v_cvt_f64_f32_e32 v[4:5], v6
	;; [unrolled: 1-line block ×4, first 2 shown]
	v_mul_f64 v[2:3], v[2:3], s[2:3]
	v_mul_f64 v[4:5], v[4:5], s[2:3]
	;; [unrolled: 1-line block ×4, first 2 shown]
	v_cvt_f32_f64_e32 v2, v[2:3]
	v_cvt_f32_f64_e32 v3, v[4:5]
	;; [unrolled: 1-line block ×4, first 2 shown]
	v_add_co_u32_e32 v6, vcc, s4, v0
	v_addc_co_u32_e32 v7, vcc, v1, v11, vcc
	global_store_dwordx2 v[0:1], v[2:3], off
	global_store_dwordx2 v[6:7], v[4:5], off
.LBB0_31:
	s_endpgm
	.section	.rodata,"a",@progbits
	.p2align	6, 0x0
	.amdhsa_kernel bluestein_single_back_len2002_dim1_sp_op_CI_CI
		.amdhsa_group_segment_fixed_size 16016
		.amdhsa_private_segment_fixed_size 12
		.amdhsa_kernarg_size 104
		.amdhsa_user_sgpr_count 6
		.amdhsa_user_sgpr_private_segment_buffer 1
		.amdhsa_user_sgpr_dispatch_ptr 0
		.amdhsa_user_sgpr_queue_ptr 0
		.amdhsa_user_sgpr_kernarg_segment_ptr 1
		.amdhsa_user_sgpr_dispatch_id 0
		.amdhsa_user_sgpr_flat_scratch_init 0
		.amdhsa_user_sgpr_private_segment_size 0
		.amdhsa_uses_dynamic_stack 0
		.amdhsa_system_sgpr_private_segment_wavefront_offset 1
		.amdhsa_system_sgpr_workgroup_id_x 1
		.amdhsa_system_sgpr_workgroup_id_y 0
		.amdhsa_system_sgpr_workgroup_id_z 0
		.amdhsa_system_sgpr_workgroup_info 0
		.amdhsa_system_vgpr_workitem_id 0
		.amdhsa_next_free_vgpr 256
		.amdhsa_next_free_sgpr 28
		.amdhsa_reserve_vcc 1
		.amdhsa_reserve_flat_scratch 0
		.amdhsa_float_round_mode_32 0
		.amdhsa_float_round_mode_16_64 0
		.amdhsa_float_denorm_mode_32 3
		.amdhsa_float_denorm_mode_16_64 3
		.amdhsa_dx10_clamp 1
		.amdhsa_ieee_mode 1
		.amdhsa_fp16_overflow 0
		.amdhsa_exception_fp_ieee_invalid_op 0
		.amdhsa_exception_fp_denorm_src 0
		.amdhsa_exception_fp_ieee_div_zero 0
		.amdhsa_exception_fp_ieee_overflow 0
		.amdhsa_exception_fp_ieee_underflow 0
		.amdhsa_exception_fp_ieee_inexact 0
		.amdhsa_exception_int_div_zero 0
	.end_amdhsa_kernel
	.text
.Lfunc_end0:
	.size	bluestein_single_back_len2002_dim1_sp_op_CI_CI, .Lfunc_end0-bluestein_single_back_len2002_dim1_sp_op_CI_CI
                                        ; -- End function
	.section	.AMDGPU.csdata,"",@progbits
; Kernel info:
; codeLenInByte = 18196
; NumSgprs: 32
; NumVgprs: 256
; ScratchSize: 12
; MemoryBound: 0
; FloatMode: 240
; IeeeMode: 1
; LDSByteSize: 16016 bytes/workgroup (compile time only)
; SGPRBlocks: 3
; VGPRBlocks: 63
; NumSGPRsForWavesPerEU: 32
; NumVGPRsForWavesPerEU: 256
; Occupancy: 1
; WaveLimiterHint : 1
; COMPUTE_PGM_RSRC2:SCRATCH_EN: 1
; COMPUTE_PGM_RSRC2:USER_SGPR: 6
; COMPUTE_PGM_RSRC2:TRAP_HANDLER: 0
; COMPUTE_PGM_RSRC2:TGID_X_EN: 1
; COMPUTE_PGM_RSRC2:TGID_Y_EN: 0
; COMPUTE_PGM_RSRC2:TGID_Z_EN: 0
; COMPUTE_PGM_RSRC2:TIDIG_COMP_CNT: 0
	.type	__hip_cuid_bd2b1f1bdf51dac6,@object ; @__hip_cuid_bd2b1f1bdf51dac6
	.section	.bss,"aw",@nobits
	.globl	__hip_cuid_bd2b1f1bdf51dac6
__hip_cuid_bd2b1f1bdf51dac6:
	.byte	0                               ; 0x0
	.size	__hip_cuid_bd2b1f1bdf51dac6, 1

	.ident	"AMD clang version 19.0.0git (https://github.com/RadeonOpenCompute/llvm-project roc-6.4.0 25133 c7fe45cf4b819c5991fe208aaa96edf142730f1d)"
	.section	".note.GNU-stack","",@progbits
	.addrsig
	.addrsig_sym __hip_cuid_bd2b1f1bdf51dac6
	.amdgpu_metadata
---
amdhsa.kernels:
  - .args:
      - .actual_access:  read_only
        .address_space:  global
        .offset:         0
        .size:           8
        .value_kind:     global_buffer
      - .actual_access:  read_only
        .address_space:  global
        .offset:         8
        .size:           8
        .value_kind:     global_buffer
      - .actual_access:  read_only
        .address_space:  global
        .offset:         16
        .size:           8
        .value_kind:     global_buffer
      - .actual_access:  read_only
        .address_space:  global
        .offset:         24
        .size:           8
        .value_kind:     global_buffer
      - .actual_access:  read_only
        .address_space:  global
        .offset:         32
        .size:           8
        .value_kind:     global_buffer
      - .offset:         40
        .size:           8
        .value_kind:     by_value
      - .address_space:  global
        .offset:         48
        .size:           8
        .value_kind:     global_buffer
      - .address_space:  global
        .offset:         56
        .size:           8
        .value_kind:     global_buffer
      - .address_space:  global
        .offset:         64
        .size:           8
        .value_kind:     global_buffer
      - .address_space:  global
        .offset:         72
        .size:           8
        .value_kind:     global_buffer
      - .offset:         80
        .size:           4
        .value_kind:     by_value
      - .address_space:  global
        .offset:         88
        .size:           8
        .value_kind:     global_buffer
      - .address_space:  global
        .offset:         96
        .size:           8
        .value_kind:     global_buffer
    .group_segment_fixed_size: 16016
    .kernarg_segment_align: 8
    .kernarg_segment_size: 104
    .language:       OpenCL C
    .language_version:
      - 2
      - 0
    .max_flat_workgroup_size: 182
    .name:           bluestein_single_back_len2002_dim1_sp_op_CI_CI
    .private_segment_fixed_size: 12
    .sgpr_count:     32
    .sgpr_spill_count: 0
    .symbol:         bluestein_single_back_len2002_dim1_sp_op_CI_CI.kd
    .uniform_work_group_size: 1
    .uses_dynamic_stack: false
    .vgpr_count:     256
    .vgpr_spill_count: 2
    .wavefront_size: 64
amdhsa.target:   amdgcn-amd-amdhsa--gfx906
amdhsa.version:
  - 1
  - 2
...

	.end_amdgpu_metadata
